;; amdgpu-corpus repo=ROCm/rocFFT kind=compiled arch=gfx1030 opt=O3
	.text
	.amdgcn_target "amdgcn-amd-amdhsa--gfx1030"
	.amdhsa_code_object_version 6
	.protected	bluestein_single_fwd_len2430_dim1_sp_op_CI_CI ; -- Begin function bluestein_single_fwd_len2430_dim1_sp_op_CI_CI
	.globl	bluestein_single_fwd_len2430_dim1_sp_op_CI_CI
	.p2align	8
	.type	bluestein_single_fwd_len2430_dim1_sp_op_CI_CI,@function
bluestein_single_fwd_len2430_dim1_sp_op_CI_CI: ; @bluestein_single_fwd_len2430_dim1_sp_op_CI_CI
; %bb.0:
	s_load_dwordx4 s[16:19], s[4:5], 0x28
	v_mul_u32_u24_e32 v1, 0x32a, v0
	s_mov_b64 s[22:23], s[2:3]
	s_mov_b64 s[20:21], s[0:1]
	v_mov_b32_e32 v3, 0
	s_add_u32 s20, s20, s7
	v_lshrrev_b32_e32 v1, 16, v1
	s_addc_u32 s21, s21, 0
	s_mov_b32 s0, exec_lo
	v_add_nc_u32_e32 v2, s6, v1
	s_waitcnt lgkmcnt(0)
	v_cmpx_gt_u64_e64 s[16:17], v[2:3]
	s_cbranch_execz .LBB0_2
; %bb.1:
	s_clause 0x1
	s_load_dwordx4 s[0:3], s[4:5], 0x18
	s_load_dwordx4 s[8:11], s[4:5], 0x0
	v_mov_b32_e32 v4, v2
	v_mul_lo_u16 v1, 0x51, v1
	s_load_dwordx2 s[4:5], s[4:5], 0x38
	v_sub_nc_u16 v104, v0, v1
	v_and_b32_e32 v129, 0xffff, v104
	v_lshlrev_b32_e32 v63, 3, v129
	v_add_co_u32 v145, null, 0x144, v129
	s_waitcnt lgkmcnt(0)
	s_load_dwordx4 s[12:15], s[0:1], 0x0
	buffer_store_dword v4, off, s[20:23], 0 ; 4-byte Folded Spill
	buffer_store_dword v5, off, s[20:23], 0 offset:4 ; 4-byte Folded Spill
	s_clause 0x1
	global_load_dwordx2 v[76:77], v63, s[8:9]
	global_load_dwordx2 v[54:55], v63, s[8:9] offset:1944
	v_add_co_u32 v202, s0, s8, v63
	v_add_co_ci_u32_e64 v203, null, s9, 0, s0
	v_add_nc_u32_e32 v244, 0x1000, v63
	v_add_nc_u32_e32 v243, 0x2000, v63
	;; [unrolled: 1-line block ×3, first 2 shown]
	v_mov_b32_e32 v246, v63
	v_add_nc_u32_e32 v253, 0x2800, v63
	v_add_nc_u32_e32 v200, 0x4400, v63
	;; [unrolled: 1-line block ×3, first 2 shown]
	v_add_co_u32 v144, null, 0x195, v129
	v_add_nc_u32_e32 v245, 0x3800, v246
	v_add_nc_u32_e32 v249, 0x1c00, v246
	;; [unrolled: 1-line block ×3, first 2 shown]
	v_add_co_u32 v150, null, 0x1e6, v129
	s_waitcnt lgkmcnt(0)
	v_mad_u64_u32 v[0:1], null, s14, v2, 0
	v_mad_u64_u32 v[2:3], null, s12, v129, 0
	s_mul_i32 s1, s13, 0x798
	s_mul_hi_u32 s6, s12, 0x798
	s_mul_i32 s0, s12, 0x798
	s_add_i32 s1, s6, s1
	s_mul_i32 s6, s13, 0xffffbe30
	v_add_co_u32 v149, null, 0x237, v129
	s_sub_i32 s6, s6, s12
	v_add_co_u32 v151, null, 0x288, v129
	v_add_co_u32 v148, null, 0x2d9, v129
	v_mad_u64_u32 v[4:5], null, s15, v4, v[1:2]
	s_waitcnt vmcnt(0)
	v_mov_b32_e32 v56, v55
	v_mov_b32_e32 v55, v54
	v_mad_u64_u32 v[5:6], null, s13, v129, v[3:4]
	v_mov_b32_e32 v1, v4
	v_lshlrev_b64 v[0:1], 3, v[0:1]
	v_mov_b32_e32 v3, v5
	v_add_co_u32 v0, vcc_lo, s18, v0
	v_lshlrev_b64 v[2:3], 3, v[2:3]
	v_add_co_ci_u32_e32 v1, vcc_lo, s19, v1, vcc_lo
	v_add_co_u32 v0, vcc_lo, v0, v2
	v_add_co_ci_u32_e32 v1, vcc_lo, v1, v3, vcc_lo
	v_add_co_u32 v4, vcc_lo, v0, s0
	;; [unrolled: 2-line block ×14, first 2 shown]
	v_add_co_ci_u32_e32 v29, vcc_lo, 0, v203, vcc_lo
	s_clause 0x1
	global_load_dwordx2 v[0:1], v[0:1], off
	global_load_dwordx2 v[2:3], v[4:5], off
	global_load_dwordx2 v[80:81], v[12:13], off offset:1840
	global_load_dwordx2 v[4:5], v[6:7], off
	global_load_dwordx2 v[59:60], v[14:15], off offset:1736
	;; [unrolled: 2-line block ×4, first 2 shown]
	global_load_dwordx2 v[10:11], v[20:21], off
	s_clause 0x1
	global_load_dwordx2 v[100:101], v63, s[8:9] offset:648
	global_load_dwordx2 v[102:103], v63, s[8:9] offset:1296
	v_add_co_u32 v20, vcc_lo, v20, s0
	v_add_co_ci_u32_e32 v21, vcc_lo, s1, v21, vcc_lo
	v_add_co_u32 v30, vcc_lo, 0x4800, v202
	v_add_co_ci_u32_e32 v31, vcc_lo, 0, v203, vcc_lo
	v_mov_b32_e32 v116, v31
	v_mov_b32_e32 v115, v30
	v_add_co_u32 v30, vcc_lo, v20, s0
	v_add_co_ci_u32_e32 v31, vcc_lo, s1, v21, vcc_lo
	buffer_store_dword v115, off, s[20:23], 0 offset:524 ; 4-byte Folded Spill
	buffer_store_dword v116, off, s[20:23], 0 offset:528 ; 4-byte Folded Spill
	v_add_co_u32 v32, vcc_lo, v30, s0
	v_add_co_ci_u32_e32 v33, vcc_lo, s1, v31, vcc_lo
	s_clause 0x1
	global_load_dwordx2 v[105:106], v[26:27], off offset:1216
	global_load_dwordx2 v[90:91], v[28:29], off offset:1112
	v_add_co_u32 v34, vcc_lo, v32, s0
	v_add_co_ci_u32_e32 v35, vcc_lo, s1, v33, vcc_lo
	s_clause 0x8
	global_load_dwordx2 v[98:99], v[12:13], off offset:544
	global_load_dwordx2 v[96:97], v[12:13], off offset:1192
	;; [unrolled: 1-line block ×9, first 2 shown]
	v_mad_u64_u32 v[12:13], null, 0xffffbe30, s12, v[34:35]
	s_clause 0x2
	global_load_dwordx2 v[111:112], v[22:23], off offset:1424
	global_load_dwordx2 v[68:69], v[22:23], off offset:776
	;; [unrolled: 1-line block ×3, first 2 shown]
	global_load_dwordx2 v[20:21], v[20:21], off
	s_clause 0x2
	global_load_dwordx2 v[92:93], v[24:25], off offset:1320
	global_load_dwordx2 v[82:83], v[24:25], off offset:1968
	global_load_dwordx2 v[70:71], v[24:25], off offset:672
	global_load_dwordx2 v[30:31], v[30:31], off
	v_add_nc_u32_e32 v13, s6, v13
	v_add_co_u32 v14, vcc_lo, v12, s0
	global_load_dwordx2 v[32:33], v[32:33], off
	global_load_dwordx2 v[34:35], v[34:35], off
	v_add_co_ci_u32_e32 v15, vcc_lo, s1, v13, vcc_lo
	v_add_co_u32 v16, vcc_lo, v14, s0
	s_clause 0x1
	global_load_dwordx2 v[113:114], v[26:27], off offset:1864
	global_load_dwordx2 v[64:65], v[26:27], off offset:568
	global_load_dwordx2 v[12:13], v[12:13], off
	v_add_co_ci_u32_e32 v17, vcc_lo, s1, v15, vcc_lo
	v_add_co_u32 v18, vcc_lo, v16, s0
	v_add_co_ci_u32_e32 v19, vcc_lo, s1, v17, vcc_lo
	v_add_co_u32 v22, vcc_lo, v18, s0
	;; [unrolled: 2-line block ×4, first 2 shown]
	s_clause 0x1
	global_load_dwordx2 v[84:85], v[28:29], off offset:1760
	global_load_dwordx2 v[66:67], v[28:29], off offset:464
	global_load_dwordx2 v[14:15], v[14:15], off
	global_load_dwordx2 v[16:17], v[16:17], off
	;; [unrolled: 1-line block ×5, first 2 shown]
	v_add_co_ci_u32_e32 v39, vcc_lo, s1, v37, vcc_lo
	v_add_co_u32 v40, vcc_lo, v38, s0
	v_add_co_ci_u32_e32 v41, vcc_lo, s1, v39, vcc_lo
	v_add_co_u32 v24, vcc_lo, v40, s0
	global_load_dwordx2 v[36:37], v[38:39], off
	v_add_co_ci_u32_e32 v25, vcc_lo, s1, v41, vcc_lo
	v_add_co_u32 v42, vcc_lo, v24, s0
	global_load_dwordx2 v[40:41], v[40:41], off
	v_add_co_ci_u32_e32 v43, vcc_lo, s1, v25, vcc_lo
	global_load_dwordx2 v[24:25], v[24:25], off
	v_mad_u64_u32 v[26:27], null, 0xffffbe30, s12, v[42:43]
	v_add_nc_u32_e32 v27, s6, v27
	v_add_co_u32 v38, vcc_lo, v26, s0
	v_add_co_ci_u32_e32 v39, vcc_lo, s1, v27, vcc_lo
	v_add_co_u32 v44, vcc_lo, v38, s0
	v_add_co_ci_u32_e32 v45, vcc_lo, s1, v39, vcc_lo
	;; [unrolled: 2-line block ×3, first 2 shown]
	global_load_dwordx2 v[42:43], v[42:43], off
	global_load_dwordx2 v[26:27], v[26:27], off
	;; [unrolled: 1-line block ×5, first 2 shown]
	buffer_store_dword v76, off, s[20:23], 0 offset:240 ; 4-byte Folded Spill
	buffer_store_dword v77, off, s[20:23], 0 offset:244 ; 4-byte Folded Spill
	;; [unrolled: 1-line block ×4, first 2 shown]
	v_add_co_u32 v46, vcc_lo, v46, s0
	v_add_co_ci_u32_e32 v47, vcc_lo, s1, v47, vcc_lo
	v_add_co_u32 v50, vcc_lo, v46, s0
	v_add_co_ci_u32_e32 v51, vcc_lo, s1, v47, vcc_lo
	global_load_dwordx2 v[46:47], v[46:47], off
	s_waitcnt vmcnt(49)
	buffer_store_dword v80, off, s[20:23], 0 offset:216 ; 4-byte Folded Spill
	buffer_store_dword v81, off, s[20:23], 0 offset:220 ; 4-byte Folded Spill
	v_mul_f32_e32 v53, v0, v77
	v_mul_f32_e32 v52, v1, v77
	;; [unrolled: 1-line block ×3, first 2 shown]
	v_fma_f32 v53, v1, v76, -v53
	v_mul_f32_e32 v1, v2, v56
	v_fmac_f32_e32 v54, v2, v55
	v_add_co_u32 v2, vcc_lo, v50, s0
	v_fmac_f32_e32 v52, v0, v76
	v_fma_f32 v55, v3, v55, -v1
	v_add_co_ci_u32_e32 v3, vcc_lo, s1, v51, vcc_lo
	global_load_dwordx2 v[50:51], v[50:51], off
	ds_write_b64 v63, v[54:55] offset:1944
	s_waitcnt vmcnt(48)
	buffer_store_dword v59, off, s[20:23], 0 offset:128 ; 4-byte Folded Spill
	buffer_store_dword v60, off, s[20:23], 0 offset:132 ; 4-byte Folded Spill
	v_add_co_u32 v54, vcc_lo, v2, s0
	v_add_co_ci_u32_e32 v55, vcc_lo, s1, v3, vcc_lo
	global_load_dwordx2 v[2:3], v[2:3], off
	v_mul_f32_e32 v56, v4, v81
	v_mul_f32_e32 v0, v5, v81
	v_fma_f32 v1, v5, v80, -v56
	v_fmac_f32_e32 v0, v4, v80
	ds_write_b64 v63, v[0:1] offset:3888
	s_waitcnt vmcnt(47)
	buffer_store_dword v78, off, s[20:23], 0 offset:200 ; 4-byte Folded Spill
	buffer_store_dword v79, off, s[20:23], 0 offset:204 ; 4-byte Folded Spill
	v_mul_f32_e32 v5, v6, v60
	v_mul_f32_e32 v4, v7, v60
	v_fma_f32 v5, v7, v59, -v5
	v_fmac_f32_e32 v4, v6, v59
	v_add_co_u32 v6, vcc_lo, v54, s0
	v_add_co_ci_u32_e32 v7, vcc_lo, s1, v55, vcc_lo
	global_load_dwordx2 v[54:55], v[54:55], off
	ds_write_b64 v63, v[4:5] offset:5832
	s_waitcnt vmcnt(46)
	buffer_store_dword v57, off, s[20:23], 0 offset:112 ; 4-byte Folded Spill
	buffer_store_dword v58, off, s[20:23], 0 offset:116 ; 4-byte Folded Spill
	v_add_nc_u32_e32 v59, 0x3c00, v63
	v_mov_b32_e32 v251, v59
	v_mul_f32_e32 v0, v9, v79
	v_mul_f32_e32 v1, v8, v79
	v_fmac_f32_e32 v0, v8, v78
	v_add_co_u32 v8, vcc_lo, v6, s0
	v_fma_f32 v1, v9, v78, -v1
	v_add_co_ci_u32_e32 v9, vcc_lo, s1, v7, vcc_lo
	global_load_dwordx2 v[6:7], v[6:7], off
	v_cmp_gt_u16_e32 vcc_lo, 9, v104
	s_waitcnt vmcnt(46)
	v_mul_f32_e32 v5, v10, v58
	v_mul_f32_e32 v4, v11, v58
	v_add_nc_u32_e32 v58, 0x800, v63
	v_fma_f32 v5, v11, v57, -v5
	v_fmac_f32_e32 v4, v10, v57
	global_load_dwordx2 v[56:57], v[115:116], off offset:360
	global_load_dwordx2 v[8:9], v[8:9], off
	s_waitcnt vmcnt(34)
	buffer_store_dword v111, off, s[20:23], 0 offset:184 ; 4-byte Folded Spill
	buffer_store_dword v112, off, s[20:23], 0 offset:188 ; 4-byte Folded Spill
	ds_write_b64 v63, v[0:1] offset:7776
	s_waitcnt vmcnt(30)
	buffer_store_dword v92, off, s[20:23], 0 offset:96 ; 4-byte Folded Spill
	buffer_store_dword v93, off, s[20:23], 0 offset:100 ; 4-byte Folded Spill
	ds_write_b64 v63, v[4:5] offset:9720
	v_mov_b32_e32 v255, v58
	v_mul_f32_e32 v10, v20, v112
	v_mul_f32_e32 v0, v21, v112
	s_waitcnt vmcnt(27)
	v_mul_f32_e32 v4, v31, v93
	v_fma_f32 v1, v21, v111, -v10
	v_fmac_f32_e32 v0, v20, v111
	v_mul_f32_e32 v10, v30, v93
	v_fmac_f32_e32 v4, v30, v92
	ds_write_b64 v63, v[0:1] offset:11664
	buffer_store_dword v105, off, s[20:23], 0 offset:144 ; 4-byte Folded Spill
	buffer_store_dword v106, off, s[20:23], 0 offset:148 ; 4-byte Folded Spill
	v_fma_f32 v5, v31, v92, -v10
	buffer_store_dword v90, off, s[20:23], 0 offset:104 ; 4-byte Folded Spill
	buffer_store_dword v91, off, s[20:23], 0 offset:108 ; 4-byte Folded Spill
	ds_write_b64 v63, v[4:5] offset:13608
	s_waitcnt vmcnt(22)
	v_mul_f32_e32 v4, v12, v101
	v_mul_f32_e32 v1, v32, v106
	;; [unrolled: 1-line block ×5, first 2 shown]
	v_fma_f32 v1, v33, v105, -v1
	v_fmac_f32_e32 v0, v32, v105
	v_fma_f32 v11, v35, v90, -v11
	v_fmac_f32_e32 v10, v34, v90
	v_add_nc_u32_e32 v35, 0xc00, v246
	v_add_nc_u32_e32 v33, 0x3400, v63
	ds_write_b64 v63, v[0:1] offset:15552
	v_mul_f32_e32 v0, v13, v101
	v_fma_f32 v1, v13, v100, -v4
	buffer_store_dword v100, off, s[20:23], 0 offset:232 ; 4-byte Folded Spill
	buffer_store_dword v101, off, s[20:23], 0 offset:236 ; 4-byte Folded Spill
	s_load_dwordx4 s[0:3], s[2:3], 0x0
	ds_write_b64 v63, v[10:11] offset:17496
	buffer_store_dword v98, off, s[20:23], 0 offset:152 ; 4-byte Folded Spill
	buffer_store_dword v99, off, s[20:23], 0 offset:156 ; 4-byte Folded Spill
	v_mov_b32_e32 v131, v33
	v_mov_b32_e32 v132, v35
	v_fmac_f32_e32 v0, v12, v100
	s_waitcnt vmcnt(19)
	v_mul_f32_e32 v5, v14, v99
	v_mul_f32_e32 v4, v15, v99
	ds_write2_b64 v63, v[52:53], v[0:1] offset1:81
	buffer_store_dword v61, off, s[20:23], 0 offset:224 ; 4-byte Folded Spill
	buffer_store_dword v62, off, s[20:23], 0 offset:228 ; 4-byte Folded Spill
	;; [unrolled: 1-line block ×22, first 2 shown]
	v_fma_f32 v5, v15, v98, -v5
	v_fmac_f32_e32 v4, v14, v98
	s_waitcnt vmcnt(18)
	v_mul_f32_e32 v1, v16, v62
	v_mul_f32_e32 v0, v17, v62
	s_waitcnt vmcnt(16)
	v_mul_f32_e32 v13, v22, v110
	s_waitcnt vmcnt(15)
	v_mul_f32_e32 v15, v28, v87
	v_mul_f32_e32 v14, v29, v87
	v_mul_f32_e32 v12, v23, v110
	s_waitcnt vmcnt(12)
	v_mul_f32_e32 v21, v24, v114
	v_mul_f32_e32 v20, v25, v114
	v_fma_f32 v15, v29, v86, -v15
	v_fmac_f32_e32 v14, v28, v86
	s_waitcnt vmcnt(9)
	v_mul_f32_e32 v29, v38, v97
	v_fma_f32 v21, v25, v113, -v21
	v_fmac_f32_e32 v20, v24, v113
	v_mul_f32_e32 v25, v26, v103
	v_mul_f32_e32 v24, v27, v103
	;; [unrolled: 1-line block ×5, first 2 shown]
	v_fma_f32 v25, v27, v102, -v25
	v_fmac_f32_e32 v24, v26, v102
	s_waitcnt vmcnt(8)
	v_mul_f32_e32 v27, v44, v95
	v_mul_f32_e32 v26, v45, v95
	v_fma_f32 v1, v17, v61, -v1
	v_fmac_f32_e32 v0, v16, v61
	ds_write_b64 v63, v[24:25] offset:1296
	buffer_store_dword v74, off, s[20:23], 0 offset:56 ; 4-byte Folded Spill
	buffer_store_dword v75, off, s[20:23], 0 offset:60 ; 4-byte Folded Spill
	;; [unrolled: 1-line block ×4, first 2 shown]
	v_fma_f32 v13, v23, v109, -v13
	v_fmac_f32_e32 v12, v22, v109
	v_fma_f32 v29, v39, v96, -v29
	v_fmac_f32_e32 v28, v38, v96
	;; [unrolled: 2-line block ×4, first 2 shown]
	ds_write2_b64 v58, v[4:5], v[28:29] offset0:68 offset1:149
	v_mul_f32_e32 v23, v42, v85
	v_mul_f32_e32 v22, v43, v85
	;; [unrolled: 1-line block ×6, first 2 shown]
	v_fma_f32 v23, v43, v84, -v23
	v_fmac_f32_e32 v22, v42, v84
	v_fma_f32 v17, v37, v107, -v17
	v_fmac_f32_e32 v16, v36, v107
	;; [unrolled: 2-line block ×3, first 2 shown]
	s_waitcnt vmcnt(7)
	v_mul_f32_e32 v25, v48, v75
	s_waitcnt vmcnt(6)
	v_mul_f32_e32 v31, v46, v73
	v_mul_f32_e32 v30, v47, v73
	;; [unrolled: 1-line block ×3, first 2 shown]
	v_fma_f32 v25, v49, v74, -v25
	v_fma_f32 v31, v47, v72, -v31
	v_fmac_f32_e32 v30, v46, v72
	v_fmac_f32_e32 v24, v48, v74
	ds_write2_b64 v244, v[0:1], v[26:27] offset0:55 offset1:136
	ds_write2_b64 v254, v[10:11], v[24:25] offset0:42 offset1:123
	buffer_store_dword v68, off, s[20:23], 0 offset:40 ; 4-byte Folded Spill
	buffer_store_dword v69, off, s[20:23], 0 offset:44 ; 4-byte Folded Spill
	ds_write2_b64 v243, v[12:13], v[30:31] offset0:29 offset1:110
	buffer_store_dword v70, off, s[20:23], 0 offset:32 ; 4-byte Folded Spill
	buffer_store_dword v71, off, s[20:23], 0 offset:36 ; 4-byte Folded Spill
	buffer_store_dword v64, off, s[20:23], 0 offset:24 ; 4-byte Folded Spill
	buffer_store_dword v65, off, s[20:23], 0 offset:28 ; 4-byte Folded Spill
	buffer_store_dword v66, off, s[20:23], 0 offset:16 ; 4-byte Folded Spill
	buffer_store_dword v67, off, s[20:23], 0 offset:20 ; 4-byte Folded Spill
	s_waitcnt vmcnt(1)
	buffer_store_dword v56, off, s[20:23], 0 offset:8 ; 4-byte Folded Spill
	buffer_store_dword v57, off, s[20:23], 0 offset:12 ; 4-byte Folded Spill
	v_mul_f32_e32 v1, v50, v69
	v_mul_f32_e32 v0, v51, v69
	;; [unrolled: 1-line block ×6, first 2 shown]
	s_waitcnt vmcnt(0)
	v_mul_f32_e32 v13, v8, v57
	v_fma_f32 v5, v3, v70, -v5
	v_fma_f32 v3, v55, v64, -v10
	v_mul_f32_e32 v10, v7, v67
	v_mul_f32_e32 v12, v9, v57
	v_fmac_f32_e32 v4, v2, v70
	v_mul_f32_e32 v2, v55, v65
	v_fma_f32 v1, v51, v68, -v1
	v_fmac_f32_e32 v0, v50, v68
	v_fma_f32 v11, v7, v66, -v11
	v_fmac_f32_e32 v10, v6, v66
	;; [unrolled: 2-line block ×3, first 2 shown]
	v_fmac_f32_e32 v2, v54, v64
	ds_write2_b64 v253, v[14:15], v[0:1] offset0:16 offset1:97
	ds_write2_b64 v242, v[16:17], v[4:5] offset0:3 offset1:84
	ds_write2_b64 v33, v[18:19], v[2:3] offset0:118 offset1:199
	ds_write2_b64 v59, v[20:21], v[10:11] offset0:105 offset1:186
	ds_write2_b64 v200, v[22:23], v[12:13] offset0:92 offset1:173
	s_waitcnt lgkmcnt(0)
	s_waitcnt_vscnt null, 0x0
	s_barrier
	buffer_gl0_inv
	ds_read2_b64 v[0:3], v63 offset1:81
	ds_read2_b64 v[4:7], v35 offset0:102 offset1:183
	ds_read2_b64 v[8:11], v245 offset0:152 offset1:233
	;; [unrolled: 1-line block ×3, first 2 shown]
	v_add_nc_u32_e32 v12, 0x2c00, v246
	ds_read2_b64 v[31:34], v12 offset0:50 offset1:131
	v_mov_b32_e32 v247, v12
	s_waitcnt lgkmcnt(3)
	v_add_f32_e32 v14, v0, v4
	s_waitcnt lgkmcnt(2)
	v_sub_f32_e32 v77, v5, v9
	s_waitcnt lgkmcnt(1)
	v_sub_f32_e32 v16, v4, v27
	v_add_f32_e32 v84, v4, v8
	v_sub_f32_e32 v87, v27, v4
	v_add_f32_e32 v20, v1, v5
	v_sub_f32_e32 v78, v4, v8
	v_sub_f32_e32 v99, v5, v28
	v_add_f32_e32 v83, v5, v9
	v_sub_f32_e32 v88, v28, v5
	v_add_f32_e32 v4, v3, v7
	v_add_f32_e32 v5, v2, v6
	v_sub_f32_e32 v17, v7, v11
	v_sub_f32_e32 v13, v6, v29
	v_add_f32_e32 v23, v6, v10
	v_sub_f32_e32 v25, v29, v6
	v_sub_f32_e32 v15, v7, v30
	;; [unrolled: 3-line block ×3, first 2 shown]
	v_add_f32_e32 v6, v14, v27
	v_add_f32_e32 v7, v20, v28
	;; [unrolled: 1-line block ×4, first 2 shown]
	s_waitcnt lgkmcnt(0)
	v_add_f32_e32 v97, v27, v31
	v_add_f32_e32 v6, v6, v31
	;; [unrolled: 1-line block ×5, first 2 shown]
	v_sub_f32_e32 v81, v28, v32
	v_add_f32_e32 v98, v28, v32
	v_sub_f32_e32 v82, v27, v31
	v_sub_f32_e32 v100, v8, v31
	;; [unrolled: 1-line block ×9, first 2 shown]
	v_add_f32_e32 v85, v6, v8
	v_add_f32_e32 v86, v7, v9
	;; [unrolled: 1-line block ×4, first 2 shown]
	ds_read2_b64 v[4:7], v63 offset0:162 offset1:243
	ds_read2_b64 v[8:11], v244 offset0:136 offset1:217
	;; [unrolled: 1-line block ×4, first 2 shown]
	v_sub_f32_e32 v19, v30, v34
	v_add_f32_e32 v14, v30, v34
	v_add_f32_e32 v12, v29, v33
	v_sub_f32_e32 v20, v29, v33
	v_add_f32_e32 v101, v99, v101
	v_add_f32_e32 v87, v87, v91
	;; [unrolled: 1-line block ×3, first 2 shown]
	s_waitcnt lgkmcnt(2)
	v_add_f32_e32 v34, v6, v10
	s_waitcnt lgkmcnt(1)
	v_sub_f32_e32 v89, v11, v51
	s_waitcnt lgkmcnt(0)
	v_sub_f32_e32 v102, v10, v54
	v_add_f32_e32 v94, v10, v50
	v_sub_f32_e32 v95, v54, v10
	v_add_f32_e32 v35, v7, v11
	v_sub_f32_e32 v90, v10, v50
	v_sub_f32_e32 v103, v11, v55
	v_add_f32_e32 v92, v11, v51
	v_sub_f32_e32 v96, v55, v11
	v_add_f32_e32 v10, v4, v8
	v_add_f32_e32 v11, v5, v9
	v_sub_f32_e32 v29, v9, v49
	v_sub_f32_e32 v33, v8, v52
	v_add_f32_e32 v30, v8, v48
	v_sub_f32_e32 v32, v52, v8
	v_sub_f32_e32 v31, v8, v48
	;; [unrolled: 3-line block ×3, first 2 shown]
	v_add_f32_e32 v40, v10, v52
	v_add_f32_e32 v41, v11, v53
	ds_read2_b64 v[8:11], v242 offset0:84 offset1:165
	v_add_f32_e32 v36, v34, v54
	v_add_f32_e32 v38, v35, v55
	s_waitcnt lgkmcnt(0)
	v_add_f32_e32 v113, v54, v10
	v_sub_f32_e32 v114, v55, v11
	v_add_f32_e32 v115, v55, v11
	v_sub_f32_e32 v116, v54, v10
	;; [unrolled: 2-line block ×4, first 2 shown]
	v_add_f32_e32 v36, v36, v10
	v_add_f32_e32 v38, v38, v11
	;; [unrolled: 1-line block ×4, first 2 shown]
	v_sub_f32_e32 v117, v50, v10
	v_sub_f32_e32 v118, v10, v50
	;; [unrolled: 1-line block ×8, first 2 shown]
	ds_read2_b64 v[8:11], v58 offset0:68 offset1:149
	ds_read2_b64 v[60:63], v254 offset0:42 offset1:123
	;; [unrolled: 1-line block ×5, first 2 shown]
	v_add_f32_e32 v121, v36, v50
	v_add_f32_e32 v122, v38, v51
	;; [unrolled: 1-line block ×8, first 2 shown]
	s_waitcnt lgkmcnt(0)
	s_barrier
	buffer_gl0_inv
	v_add_f32_e32 v54, v9, v61
	v_add_f32_e32 v53, v8, v60
	v_sub_f32_e32 v50, v61, v106
	v_add_f32_e32 v56, v61, v106
	v_sub_f32_e32 v124, v61, v72
	v_sub_f32_e32 v58, v72, v61
	v_add_f32_e32 v61, v10, v62
	v_add_f32_e32 v65, v11, v63
	;; [unrolled: 1-line block ×4, first 2 shown]
	v_sub_f32_e32 v123, v60, v71
	v_sub_f32_e32 v59, v71, v60
	v_sub_f32_e32 v52, v60, v105
	v_add_f32_e32 v48, v62, v107
	v_sub_f32_e32 v45, v63, v108
	v_sub_f32_e32 v55, v62, v73
	v_sub_f32_e32 v51, v73, v62
	v_add_f32_e32 v60, v63, v108
	v_sub_f32_e32 v49, v62, v107
	v_sub_f32_e32 v64, v63, v74
	v_sub_f32_e32 v63, v74, v63
	v_add_f32_e32 v62, v53, v71
	v_add_f32_e32 v61, v61, v73
	v_add_f32_e32 v65, v65, v74
	v_sub_f32_e32 v53, v74, v112
	v_add_f32_e32 v68, v74, v112
	v_add_f32_e32 v74, v66, v110
	;; [unrolled: 1-line block ×3, first 2 shown]
	v_sub_f32_e32 v69, v71, v109
	v_add_f32_e32 v62, v62, v109
	v_add_f32_e32 v61, v61, v111
	v_sub_f32_e32 v128, v105, v109
	v_sub_f32_e32 v76, v109, v105
	;; [unrolled: 1-line block ×4, first 2 shown]
	v_add_f32_e32 v74, v74, v106
	v_fma_f32 v106, -0.5, v113, v6
	v_add_f32_e32 v67, v73, v111
	v_sub_f32_e32 v54, v73, v111
	v_sub_f32_e32 v71, v107, v111
	;; [unrolled: 1-line block ×3, first 2 shown]
	v_add_f32_e32 v73, v62, v105
	v_add_f32_e32 v61, v61, v107
	;; [unrolled: 1-line block ×3, first 2 shown]
	v_fma_f32 v107, -0.5, v115, v7
	v_fmamk_f32 v16, v89, 0x3f737871, v106
	v_sub_f32_e32 v70, v72, v110
	v_add_f32_e32 v126, v72, v110
	v_add_f32_e32 v127, v65, v112
	v_sub_f32_e32 v65, v112, v108
	v_sub_f32_e32 v72, v108, v112
	v_fmac_f32_e32 v16, 0x3f167918, v114
	v_fmamk_f32 v99, v90, 0xbf737871, v107
	v_fma_f32 v111, -0.5, v97, v0
	v_fma_f32 v112, -0.5, v98, v1
	;; [unrolled: 1-line block ×3, first 2 shown]
	v_fmac_f32_e32 v16, 0x3e9e377a, v102
	v_fmac_f32_e32 v99, 0xbf167918, v116
	v_fmamk_f32 v113, v77, 0x3f737871, v111
	v_fmamk_f32 v115, v78, 0xbf737871, v112
	v_add_f32_e32 v62, v127, v108
	v_mul_f32_e32 v108, 0x3f4f1bbd, v16
	v_fmac_f32_e32 v99, 0x3e9e377a, v103
	v_mul_f32_e32 v110, 0xbf167918, v16
	v_fmac_f32_e32 v113, 0x3f167918, v81
	v_fmac_f32_e32 v115, 0xbf167918, v82
	v_fma_f32 v1, -0.5, v83, v1
	v_fmamk_f32 v83, v114, 0xbf737871, v6
	v_fmac_f32_e32 v6, 0x3f737871, v114
	v_fma_f32 v7, -0.5, v92, v7
	v_fmac_f32_e32 v108, 0x3f167918, v99
	v_fmac_f32_e32 v110, 0x3f4f1bbd, v99
	;; [unrolled: 1-line block ×4, first 2 shown]
	v_mov_b32_e32 v16, 3
	v_mul_lo_u16 v97, v104, 10
	v_fma_f32 v0, -0.5, v84, v0
	v_fmac_f32_e32 v6, 0xbf167918, v89
	v_fmamk_f32 v84, v116, 0x3f737871, v7
	v_fmac_f32_e32 v7, 0xbf737871, v116
	v_lshlrev_b32_sdwa v117, v16, v97 dst_sel:DWORD dst_unused:UNUSED_PAD src0_sel:DWORD src1_sel:WORD_0
	v_add_f32_e32 v97, v85, v121
	v_add_f32_e32 v98, v86, v122
	;; [unrolled: 1-line block ×4, first 2 shown]
	v_fmamk_f32 v95, v81, 0xbf737871, v0
	v_fmac_f32_e32 v0, 0x3f737871, v81
	v_fmac_f32_e32 v6, 0x3e9e377a, v91
	;; [unrolled: 1-line block ×5, first 2 shown]
	ds_write_b128 v117, v[97:100]
	v_fmac_f32_e32 v95, 0x3f167918, v77
	v_fmac_f32_e32 v0, 0xbf167918, v77
	;; [unrolled: 1-line block ×3, first 2 shown]
	v_mul_f32_e32 v97, 0xbe9e377a, v6
	v_fmac_f32_e32 v106, 0xbf167918, v114
	v_fmac_f32_e32 v107, 0x3f167918, v116
	;; [unrolled: 1-line block ×4, first 2 shown]
	v_fmamk_f32 v87, v82, 0x3f737871, v1
	v_fmac_f32_e32 v1, 0xbf737871, v82
	v_fmac_f32_e32 v83, 0x3f167918, v89
	;; [unrolled: 1-line block ×4, first 2 shown]
	v_mul_f32_e32 v7, 0xbe9e377a, v7
	v_fmac_f32_e32 v111, 0xbf737871, v77
	v_fmac_f32_e32 v112, 0x3f737871, v78
	;; [unrolled: 1-line block ×11, first 2 shown]
	v_mul_f32_e32 v6, 0xbf4f1bbd, v106
	v_mul_f32_e32 v77, 0xbf4f1bbd, v107
	v_fmac_f32_e32 v87, 0x3e9e377a, v88
	v_fmac_f32_e32 v1, 0x3e9e377a, v88
	v_mul_f32_e32 v88, 0x3f737871, v84
	v_mul_f32_e32 v96, 0xbf737871, v83
	v_fmac_f32_e32 v111, 0x3e9e377a, v105
	v_fmac_f32_e32 v112, 0x3e9e377a, v101
	;; [unrolled: 1-line block ×6, first 2 shown]
	v_sub_f32_e32 v83, v85, v121
	v_sub_f32_e32 v84, v86, v122
	v_add_f32_e32 v81, v111, v6
	v_add_f32_e32 v82, v112, v77
	;; [unrolled: 1-line block ×6, first 2 shown]
	ds_write_b128 v117, v[81:84] offset:32
	v_sub_f32_e32 v81, v113, v108
	v_sub_f32_e32 v83, v95, v88
	;; [unrolled: 1-line block ×4, first 2 shown]
	v_add_f32_e32 v92, v87, v96
	v_add_f32_e32 v91, v95, v88
	buffer_store_dword v117, off, s[20:23], 0 offset:252 ; 4-byte Folded Spill
	v_mov_b32_e32 v89, 30
	ds_write_b128 v117, v[81:84] offset:48
	v_sub_f32_e32 v82, v1, v7
	v_fma_f32 v1, -0.5, v125, v8
	v_sub_f32_e32 v81, v0, v97
	v_sub_f32_e32 v83, v111, v6
	;; [unrolled: 1-line block ×3, first 2 shown]
	v_add_f32_e32 v77, v13, v79
	v_fma_f32 v79, -0.5, v126, v9
	v_fmamk_f32 v0, v50, 0x3f737871, v1
	v_fma_f32 v7, -0.5, v14, v3
	ds_write_b128 v117, v[81:84] offset:64
	v_add_f32_e32 v83, v123, v128
	v_fmamk_f32 v6, v52, 0xbf737871, v79
	v_fmac_f32_e32 v0, 0x3f167918, v70
	v_fmamk_f32 v85, v18, 0xbf737871, v7
	v_add_f32_e32 v13, v22, v74
	ds_write_b128 v117, v[91:94] offset:16
	v_fmac_f32_e32 v6, 0xbf167918, v69
	v_fmac_f32_e32 v0, 0x3e9e377a, v83
	;; [unrolled: 1-line block ×3, first 2 shown]
	v_fmac_f32_e32 v3, -0.5, v26
	v_fma_f32 v8, -0.5, v57, v8
	v_fmac_f32_e32 v6, 0x3e9e377a, v80
	v_mul_f32_e32 v82, 0x3f4f1bbd, v0
	v_mul_f32_e32 v81, 0xbf167918, v0
	v_add_co_u32 v0, s6, 0x51, v129
	v_fmac_f32_e32 v85, 0x3e9e377a, v78
	v_fmac_f32_e32 v82, 0x3f167918, v6
	;; [unrolled: 1-line block ×3, first 2 shown]
	v_fma_f32 v6, -0.5, v12, v2
	v_mul_u32_u24_e32 v87, 10, v0
	v_fma_f32 v2, -0.5, v23, v2
	v_add_f32_e32 v12, v21, v73
	v_add_f32_e32 v15, v85, v81
	v_fmamk_f32 v84, v17, 0x3f737871, v6
	v_lshlrev_b32_e32 v87, 3, v87
	v_fmamk_f32 v23, v19, 0xbf737871, v2
	v_fmac_f32_e32 v2, 0x3f737871, v19
	v_fma_f32 v9, -0.5, v56, v9
	v_fmac_f32_e32 v84, 0x3f167918, v19
	v_fmac_f32_e32 v1, 0xbf737871, v50
	;; [unrolled: 1-line block ×10, first 2 shown]
	v_add_f32_e32 v14, v84, v82
	v_fmac_f32_e32 v1, 0x3e9e377a, v83
	v_fmac_f32_e32 v6, 0xbf167918, v19
	;; [unrolled: 1-line block ×4, first 2 shown]
	ds_write_b128 v87, v[12:15]
	v_add_f32_e32 v12, v25, v28
	v_fmamk_f32 v13, v70, 0xbf737871, v8
	v_fmac_f32_e32 v8, 0x3f737871, v70
	v_fmamk_f32 v14, v69, 0x3f737871, v9
	v_fmac_f32_e32 v9, 0xbf737871, v69
	v_fmac_f32_e32 v23, 0x3e9e377a, v12
	;; [unrolled: 1-line block ×3, first 2 shown]
	v_add_f32_e32 v12, v24, v27
	v_fmamk_f32 v24, v20, 0x3f737871, v3
	v_fmac_f32_e32 v3, 0xbf737871, v20
	v_fmac_f32_e32 v13, 0x3f167918, v50
	;; [unrolled: 1-line block ×7, first 2 shown]
	v_mul_f32_e32 v17, 0xbf4f1bbd, v79
	v_fmac_f32_e32 v6, 0x3e9e377a, v77
	v_fmac_f32_e32 v24, 0x3e9e377a, v12
	;; [unrolled: 1-line block ×3, first 2 shown]
	v_add_f32_e32 v12, v59, v76
	v_fmac_f32_e32 v7, 0x3e9e377a, v78
	v_fmac_f32_e32 v17, 0xbf167918, v1
	buffer_store_dword v87, off, s[20:23], 0 offset:260 ; 4-byte Folded Spill
	v_add_co_ci_u32_e64 v86, null, 0, 0, s6
	v_fmac_f32_e32 v13, 0x3e9e377a, v12
	v_fmac_f32_e32 v8, 0x3e9e377a, v12
	v_add_f32_e32 v12, v58, v75
	v_add_co_u32 v105, s6, 0xf3, v129
	v_mul_f32_e32 v26, 0xbf737871, v13
	v_mul_f32_e32 v27, 0xbe9e377a, v8
	v_fmac_f32_e32 v14, 0x3e9e377a, v12
	v_fmac_f32_e32 v9, 0x3e9e377a, v12
	v_mov_b32_e32 v92, v129
	v_mov_b32_e32 v91, v132
	v_mul_f32_e32 v25, 0x3f737871, v14
	v_fmac_f32_e32 v27, 0x3f737871, v9
	v_mul_f32_e32 v9, 0xbe9e377a, v9
	v_fmac_f32_e32 v26, 0x3e9e377a, v14
	v_mov_b32_e32 v207, v92
	v_fmac_f32_e32 v25, 0x3e9e377a, v13
	v_add_f32_e32 v14, v2, v27
	v_fmac_f32_e32 v9, 0xbf737871, v8
	v_mul_f32_e32 v8, 0xbf4f1bbd, v1
	v_add_f32_e32 v13, v24, v26
	v_add_f32_e32 v12, v23, v25
	v_mov_b32_e32 v208, v91
	v_add_f32_e32 v15, v3, v9
	v_fmac_f32_e32 v8, 0x3f167918, v79
	v_mov_b32_e32 v250, v208
	ds_write_b128 v87, v[12:15] offset:16
	v_sub_f32_e32 v14, v21, v73
	v_sub_f32_e32 v15, v22, v74
	v_add_f32_e32 v12, v6, v8
	v_add_f32_e32 v13, v7, v17
	ds_write_b128 v87, v[12:15] offset:32
	v_sub_f32_e32 v12, v84, v82
	v_sub_f32_e32 v14, v23, v25
	;; [unrolled: 1-line block ×4, first 2 shown]
	v_fma_f32 v24, -0.5, v43, v4
	v_fma_f32 v25, -0.5, v44, v5
	;; [unrolled: 1-line block ×3, first 2 shown]
	v_fmac_f32_e32 v5, -0.5, v37
	ds_write_b128 v87, v[12:15] offset:48
	v_sub_f32_e32 v13, v3, v9
	v_sub_f32_e32 v12, v2, v27
	;; [unrolled: 1-line block ×4, first 2 shown]
	v_add_f32_e32 v3, v55, v71
	v_fmamk_f32 v18, v29, 0x3f737871, v24
	v_fmamk_f32 v21, v31, 0xbf737871, v25
	v_add_f32_e32 v2, v33, v46
	ds_write_b128 v87, v[12:15] offset:64
	v_fma_f32 v14, -0.5, v67, v10
	v_fma_f32 v15, -0.5, v68, v11
	v_add_f32_e32 v12, v64, v72
	v_add_f32_e32 v13, v42, v47
	v_fmac_f32_e32 v18, 0x3f167918, v35
	v_fmamk_f32 v1, v45, 0x3f737871, v14
	v_fmamk_f32 v6, v49, 0xbf737871, v15
	v_fmac_f32_e32 v21, 0xbf167918, v34
	v_add_f32_e32 v7, v36, v62
	v_fmac_f32_e32 v18, 0x3e9e377a, v2
	v_fmac_f32_e32 v1, 0x3f167918, v53
	;; [unrolled: 1-line block ×4, first 2 shown]
	v_fmac_f32_e32 v11, -0.5, v60
	v_fmamk_f32 v23, v35, 0xbf737871, v4
	v_fmac_f32_e32 v1, 0x3e9e377a, v3
	v_fmac_f32_e32 v6, 0x3e9e377a, v12
	;; [unrolled: 1-line block ×3, first 2 shown]
	v_fmamk_f32 v26, v34, 0x3f737871, v5
	v_fmac_f32_e32 v23, 0x3f167918, v29
	v_mul_f32_e32 v17, 0x3f4f1bbd, v1
	v_mul_f32_e32 v19, 0xbf167918, v1
	v_add_co_u32 v1, null, 0xa2, v129
	v_fmac_f32_e32 v4, 0xbf167918, v29
	v_fmac_f32_e32 v17, 0x3f167918, v6
	;; [unrolled: 1-line block ×3, first 2 shown]
	v_mul_u32_u24_e32 v20, 10, v1
	v_add_f32_e32 v6, v38, v61
	v_fmac_f32_e32 v5, 0xbf737871, v34
	v_add_f32_e32 v8, v18, v17
	v_add_f32_e32 v9, v21, v19
	v_lshlrev_b32_e32 v28, 3, v20
	v_add_f32_e32 v20, v32, v41
	v_fmac_f32_e32 v26, 0xbf167918, v31
	v_fmac_f32_e32 v5, 0x3f167918, v31
	;; [unrolled: 1-line block ×3, first 2 shown]
	ds_write_b128 v28, v[6:9]
	v_fma_f32 v8, -0.5, v48, v10
	v_add_f32_e32 v6, v51, v66
	v_fmamk_f32 v10, v54, 0x3f737871, v11
	v_fmac_f32_e32 v11, 0xbf737871, v54
	v_add_f32_e32 v7, v63, v65
	v_fmamk_f32 v9, v53, 0xbf737871, v8
	v_fmac_f32_e32 v8, 0x3f737871, v53
	v_fmac_f32_e32 v10, 0xbf167918, v49
	;; [unrolled: 1-line block ×8, first 2 shown]
	v_add_f32_e32 v20, v39, v40
	v_fmac_f32_e32 v10, 0x3e9e377a, v7
	v_fmac_f32_e32 v8, 0x3e9e377a, v6
	;; [unrolled: 1-line block ×6, first 2 shown]
	v_mul_f32_e32 v22, 0xbe9e377a, v8
	v_mul_f32_e32 v20, 0x3f737871, v10
	;; [unrolled: 1-line block ×3, first 2 shown]
	v_fmac_f32_e32 v24, 0xbf737871, v29
	v_fmac_f32_e32 v14, 0xbf167918, v53
	;; [unrolled: 1-line block ×3, first 2 shown]
	v_mul_f32_e32 v11, 0xbe9e377a, v11
	v_fmac_f32_e32 v20, 0x3e9e377a, v9
	v_fmac_f32_e32 v27, 0x3e9e377a, v10
	;; [unrolled: 1-line block ×5, first 2 shown]
	v_add_f32_e32 v6, v23, v20
	v_add_f32_e32 v8, v4, v22
	;; [unrolled: 1-line block ×3, first 2 shown]
	v_fmac_f32_e32 v24, 0xbf167918, v35
	v_add_f32_e32 v9, v5, v11
	v_fmac_f32_e32 v14, 0x3e9e377a, v3
	v_and_b32_e32 v3, 0xff, v104
	v_fmac_f32_e32 v15, 0x3e9e377a, v12
	v_fmac_f32_e32 v25, 0x3f167918, v34
	v_and_b32_e32 v12, 0xff, v0
	ds_write_b128 v28, v[6:9] offset:16
	v_fmac_f32_e32 v24, 0x3e9e377a, v2
	v_mul_f32_e32 v2, 0xbf4f1bbd, v14
	v_mul_lo_u16 v7, 0xcd, v3
	v_fmac_f32_e32 v25, 0x3e9e377a, v13
	v_mul_lo_u16 v13, 0xcd, v12
	v_mul_f32_e32 v10, 0xbf4f1bbd, v15
	v_fmac_f32_e32 v2, 0x3f167918, v15
	v_lshrrev_b16 v15, 11, v7
	v_sub_f32_e32 v18, v18, v17
	v_lshrrev_b16 v13, 11, v13
	v_fmac_f32_e32 v10, 0xbf167918, v14
	v_sub_f32_e32 v20, v23, v20
	v_mul_lo_u16 v14, v15, 10
	v_sub_f32_e32 v23, v5, v11
	v_mul_lo_u16 v17, v13, 10
	v_sub_f32_e32 v22, v4, v22
	v_sub_f32_e32 v8, v38, v61
	v_sub_nc_u16 v5, v104, v14
	v_sub_f32_e32 v9, v36, v62
	v_sub_nc_u16 v4, v0, v17
	v_add_f32_e32 v6, v24, v2
	v_add_f32_e32 v7, v25, v10
	v_and_b32_e32 v17, 0xff, v5
	v_sub_f32_e32 v19, v21, v19
	v_and_b32_e32 v14, 0xff, v4
	v_sub_f32_e32 v21, v26, v27
	v_sub_f32_e32 v24, v24, v2
	v_lshlrev_b32_e32 v2, 4, v17
	v_sub_f32_e32 v25, v25, v10
	v_lshlrev_b32_e32 v4, 4, v14
	buffer_store_dword v28, off, s[20:23], 0 offset:256 ; 4-byte Folded Spill
	ds_write_b128 v28, v[6:9] offset:32
	ds_write_b128 v28, v[18:21] offset:48
	;; [unrolled: 1-line block ×3, first 2 shown]
	s_waitcnt lgkmcnt(0)
	s_waitcnt_vscnt null, 0x0
	s_barrier
	buffer_gl0_inv
	s_clause 0x1
	global_load_dwordx4 v[27:30], v2, s[10:11]
	global_load_dwordx4 v[23:26], v4, s[10:11]
	v_mov_b32_e32 v18, 0xcccd
	ds_read2_b64 v[8:11], v254 offset0:42 offset1:123
	v_and_b32_e32 v19, 0xff, v1
	v_mul_u32_u24_sdwa v13, v13, v89 dst_sel:DWORD dst_unused:UNUSED_PAD src0_sel:WORD_0 src1_sel:DWORD
	v_mul_lo_u16 v3, 0x89, v3
	v_mul_u32_u24_sdwa v4, v105, v18 dst_sel:DWORD dst_unused:UNUSED_PAD src0_sel:WORD_0 src1_sel:DWORD
	v_add_co_ci_u32_e64 v2, null, 0, 0, s6
	v_mul_lo_u16 v20, 0xcd, v19
	v_lshrrev_b32_e32 v34, 19, v4
	ds_read2_b64 v[4:7], v242 offset0:84 offset1:165
	v_lshrrev_b16 v35, 11, v20
	v_mul_lo_u16 v20, v34, 10
	v_mul_lo_u16 v21, v35, 10
	v_sub_nc_u16 v36, v105, v20
	v_sub_nc_u16 v21, v1, v21
	v_and_b32_e32 v40, 0xff, v21
	s_waitcnt vmcnt(1)
	v_mov_b32_e32 v31, v30
	v_mov_b32_e32 v30, v29
	;; [unrolled: 1-line block ×4, first 2 shown]
	s_waitcnt vmcnt(0)
	v_mov_b32_e32 v27, v26
	v_mov_b32_e32 v26, v25
	;; [unrolled: 1-line block ×4, first 2 shown]
	buffer_store_dword v28, off, s[20:23], 0 offset:500 ; 4-byte Folded Spill
	buffer_store_dword v29, off, s[20:23], 0 offset:504 ; 4-byte Folded Spill
	;; [unrolled: 1-line block ×8, first 2 shown]
	s_waitcnt lgkmcnt(1)
	v_mul_f32_e32 v22, v8, v29
	v_mul_f32_e32 v20, v9, v29
	;; [unrolled: 1-line block ×3, first 2 shown]
	v_fmac_f32_e32 v22, v9, v28
	s_waitcnt lgkmcnt(0)
	v_mul_f32_e32 v9, v5, v31
	v_mul_f32_e32 v37, v10, v25
	;; [unrolled: 1-line block ×3, first 2 shown]
	v_fma_f32 v38, v10, v24, -v23
	v_mul_f32_e32 v10, v4, v31
	v_fma_f32 v9, v4, v30, -v9
	v_lshlrev_b16 v4, 1, v36
	v_fmac_f32_e32 v37, v11, v24
	v_mul_f32_e32 v11, v7, v27
	v_fmac_f32_e32 v10, v5, v30
	v_lshlrev_b32_e32 v5, 4, v40
	v_lshlrev_b32_sdwa v4, v16, v4 dst_sel:DWORD dst_unused:UNUSED_PAD src0_sel:DWORD src1_sel:WORD_0
	s_clause 0x1
	global_load_dwordx4 v[172:175], v5, s[10:11]
	global_load_dwordx4 v[168:171], v4, s[10:11]
	v_fma_f32 v41, v6, v26, -v11
	v_fmac_f32_e32 v39, v7, v26
	ds_read2_b64 v[4:7], v249 offset0:76 offset1:157
	v_fma_f32 v8, v8, v28, -v20
	v_sub_f32_e32 v87, v22, v10
	v_sub_f32_e32 v88, v8, v9
	s_waitcnt vmcnt(1) lgkmcnt(0)
	v_mul_f32_e32 v11, v5, v173
	v_mul_f32_e32 v43, v4, v173
	s_waitcnt vmcnt(0)
	v_mul_f32_e32 v45, v6, v169
	v_fma_f32 v42, v4, v172, -v11
	v_mul_f32_e32 v4, v7, v169
	v_fmac_f32_e32 v43, v5, v172
	v_fmac_f32_e32 v45, v7, v168
	v_fma_f32 v44, v6, v168, -v4
	ds_read2_b64 v[4:7], v131 offset0:118 offset1:199
	s_waitcnt lgkmcnt(0)
	v_mul_f32_e32 v11, v5, v175
	v_mul_f32_e32 v47, v4, v175
	;; [unrolled: 1-line block ×3, first 2 shown]
	v_fma_f32 v46, v4, v174, -v11
	v_mul_f32_e32 v4, v7, v171
	v_fmac_f32_e32 v47, v5, v174
	v_fmac_f32_e32 v49, v7, v170
	v_fma_f32 v48, v6, v170, -v4
	v_mul_u32_u24_sdwa v4, v145, v18 dst_sel:DWORD dst_unused:UNUSED_PAD src0_sel:WORD_0 src1_sel:DWORD
	v_lshrrev_b32_e32 v50, 19, v4
	v_mul_u32_u24_sdwa v4, v144, v18 dst_sel:DWORD dst_unused:UNUSED_PAD src0_sel:WORD_0 src1_sel:DWORD
	v_lshrrev_b32_e32 v51, 19, v4
	v_mul_lo_u16 v4, v50, 10
	v_sub_nc_u16 v52, v145, v4
	v_mul_lo_u16 v4, v51, 10
	v_sub_nc_u16 v53, v144, v4
	v_lshlrev_b16 v4, 1, v52
	v_lshlrev_b16 v5, 1, v53
	v_lshlrev_b32_sdwa v4, v16, v4 dst_sel:DWORD dst_unused:UNUSED_PAD src0_sel:DWORD src1_sel:WORD_0
	v_lshlrev_b32_sdwa v5, v16, v5 dst_sel:DWORD dst_unused:UNUSED_PAD src0_sel:DWORD src1_sel:WORD_0
	s_clause 0x1
	global_load_dwordx4 v[180:183], v4, s[10:11]
	global_load_dwordx4 v[176:179], v5, s[10:11]
	ds_read2_b64 v[4:7], v243 offset0:110 offset1:191
	s_waitcnt vmcnt(1) lgkmcnt(0)
	v_mul_f32_e32 v11, v5, v181
	v_mul_f32_e32 v55, v4, v181
	s_waitcnt vmcnt(0)
	v_mul_f32_e32 v57, v6, v177
	v_fma_f32 v54, v4, v180, -v11
	v_mul_f32_e32 v4, v7, v177
	v_fmac_f32_e32 v55, v5, v180
	v_fmac_f32_e32 v57, v7, v176
	v_fma_f32 v56, v6, v176, -v4
	ds_read2_b64 v[4:7], v245 offset0:152 offset1:233
	s_waitcnt lgkmcnt(0)
	v_mul_f32_e32 v11, v5, v183
	v_mul_f32_e32 v59, v4, v183
	;; [unrolled: 1-line block ×3, first 2 shown]
	v_fma_f32 v58, v4, v182, -v11
	v_mul_f32_e32 v4, v7, v179
	v_fmac_f32_e32 v59, v5, v182
	v_fmac_f32_e32 v61, v7, v178
	v_fma_f32 v60, v6, v178, -v4
	v_mul_u32_u24_sdwa v4, v150, v18 dst_sel:DWORD dst_unused:UNUSED_PAD src0_sel:WORD_0 src1_sel:DWORD
	v_lshrrev_b32_e32 v62, 19, v4
	v_mul_u32_u24_sdwa v4, v149, v18 dst_sel:DWORD dst_unused:UNUSED_PAD src0_sel:WORD_0 src1_sel:DWORD
	v_lshrrev_b32_e32 v63, 19, v4
	v_mul_lo_u16 v4, v62, 10
	v_sub_nc_u16 v64, v150, v4
	v_mul_lo_u16 v4, v63, 10
	v_sub_nc_u16 v65, v149, v4
	v_lshlrev_b16 v4, 1, v64
	v_lshlrev_b16 v5, 1, v65
	v_lshlrev_b32_sdwa v4, v16, v4 dst_sel:DWORD dst_unused:UNUSED_PAD src0_sel:DWORD src1_sel:WORD_0
	v_lshlrev_b32_sdwa v5, v16, v5 dst_sel:DWORD dst_unused:UNUSED_PAD src0_sel:DWORD src1_sel:WORD_0
	s_clause 0x1
	global_load_dwordx4 v[188:191], v4, s[10:11]
	global_load_dwordx4 v[184:187], v5, s[10:11]
	ds_read2_b64 v[4:7], v253 offset0:16 offset1:97
	s_waitcnt vmcnt(1) lgkmcnt(0)
	v_mul_f32_e32 v11, v5, v189
	v_mul_f32_e32 v67, v4, v189
	s_waitcnt vmcnt(0)
	v_mul_f32_e32 v69, v6, v185
	v_fma_f32 v66, v4, v188, -v11
	v_mul_f32_e32 v4, v7, v185
	v_fmac_f32_e32 v67, v5, v188
	v_fmac_f32_e32 v69, v7, v184
	v_fma_f32 v68, v6, v184, -v4
	ds_read2_b64 v[4:7], v248 offset0:58 offset1:139
	s_waitcnt lgkmcnt(0)
	v_mul_f32_e32 v11, v5, v191
	v_mul_f32_e32 v71, v4, v191
	;; [unrolled: 1-line block ×3, first 2 shown]
	v_fma_f32 v70, v4, v190, -v11
	v_mul_f32_e32 v4, v7, v187
	v_fmac_f32_e32 v71, v5, v190
	v_mul_u32_u24_sdwa v5, v148, v18 dst_sel:DWORD dst_unused:UNUSED_PAD src0_sel:WORD_0 src1_sel:DWORD
	v_fmac_f32_e32 v73, v7, v186
	v_fma_f32 v72, v6, v186, -v4
	v_mul_u32_u24_sdwa v4, v151, v18 dst_sel:DWORD dst_unused:UNUSED_PAD src0_sel:WORD_0 src1_sel:DWORD
	v_lshrrev_b32_e32 v75, 19, v5
	v_lshrrev_b32_e32 v74, 19, v4
	v_mul_lo_u16 v4, v74, 10
	v_sub_nc_u16 v76, v151, v4
	v_mul_lo_u16 v4, v75, 10
	v_sub_nc_u16 v77, v148, v4
	v_lshlrev_b16 v4, 1, v76
	v_lshlrev_b16 v5, 1, v77
	v_lshlrev_b32_sdwa v4, v16, v4 dst_sel:DWORD dst_unused:UNUSED_PAD src0_sel:DWORD src1_sel:WORD_0
	v_lshlrev_b32_sdwa v5, v16, v5 dst_sel:DWORD dst_unused:UNUSED_PAD src0_sel:DWORD src1_sel:WORD_0
	s_clause 0x1
	global_load_dwordx4 v[196:199], v4, s[10:11]
	global_load_dwordx4 v[192:195], v5, s[10:11]
	ds_read2_b64 v[4:7], v247 offset0:50 offset1:131
	s_waitcnt vmcnt(1) lgkmcnt(0)
	v_mul_f32_e32 v11, v5, v197
	v_mul_f32_e32 v79, v4, v197
	s_waitcnt vmcnt(0)
	v_mul_f32_e32 v81, v6, v193
	v_fma_f32 v78, v4, v196, -v11
	v_mul_f32_e32 v4, v7, v193
	v_fmac_f32_e32 v79, v5, v196
	v_fmac_f32_e32 v81, v7, v192
	v_fma_f32 v80, v6, v192, -v4
	ds_read2_b64 v[4:7], v200 offset0:92 offset1:173
	s_waitcnt lgkmcnt(0)
	v_mul_f32_e32 v11, v5, v199
	v_mul_f32_e32 v83, v4, v199
	v_mul_f32_e32 v85, v6, v195
	v_fma_f32 v82, v4, v198, -v11
	v_mul_f32_e32 v4, v7, v195
	v_fmac_f32_e32 v83, v5, v198
	v_fmac_f32_e32 v85, v7, v194
	v_fma_f32 v84, v6, v194, -v4
	ds_read2_b64 v[4:7], v246 offset1:81
	s_waitcnt lgkmcnt(0)
	v_add_f32_e32 v11, v4, v8
	v_add_f32_e32 v18, v5, v22
	;; [unrolled: 1-line block ×6, first 2 shown]
	v_mul_u32_u24_sdwa v8, v15, v89 dst_sel:DWORD dst_unused:UNUSED_PAD src0_sel:WORD_0 src1_sel:DWORD
	v_fma_f32 v5, -0.5, v10, v5
	v_fma_f32 v4, -0.5, v11, v4
	v_add_lshl_u32 v15, v8, v17, 3
	v_fmamk_f32 v18, v88, 0xbf5db3d7, v5
	v_fmamk_f32 v17, v87, 0x3f5db3d7, v4
	v_fmac_f32_e32 v4, 0xbf5db3d7, v87
	v_fmac_f32_e32 v5, 0x3f5db3d7, v88
	buffer_store_dword v15, off, s[20:23], 0 offset:480 ; 4-byte Folded Spill
	ds_read2_b64 v[8:11], v246 offset0:162 offset1:243
	ds_read2_b64 v[20:23], v255 offset0:68 offset1:149
	ds_read2_b64 v[24:27], v132 offset0:102 offset1:183
	ds_read2_b64 v[28:31], v244 offset0:136 offset1:217
	s_waitcnt lgkmcnt(0)
	s_waitcnt_vscnt null, 0x0
	s_barrier
	buffer_gl0_inv
	ds_write2_b64 v15, v[32:33], v[17:18] offset1:10
	ds_write_b64 v15, v[4:5] offset:160
	v_add_f32_e32 v4, v38, v41
	v_add_f32_e32 v5, v6, v38
	;; [unrolled: 1-line block ×3, first 2 shown]
	v_sub_f32_e32 v17, v37, v39
	v_add_lshl_u32 v18, v13, v14, 3
	v_fma_f32 v6, -0.5, v4, v6
	v_add_f32_e32 v4, v5, v41
	v_add_f32_e32 v5, v15, v39
	;; [unrolled: 1-line block ×3, first 2 shown]
	buffer_store_dword v18, off, s[20:23], 0 offset:476 ; 4-byte Folded Spill
	v_fmamk_f32 v13, v17, 0x3f5db3d7, v6
	v_fmac_f32_e32 v6, 0xbf5db3d7, v17
	v_mov_b32_e32 v87, v131
	v_fmac_f32_e32 v7, -0.5, v15
	v_sub_f32_e32 v15, v38, v41
	v_mov_b32_e32 v252, v87
	v_fmamk_f32 v14, v15, 0xbf5db3d7, v7
	v_fmac_f32_e32 v7, 0x3f5db3d7, v15
	v_sub_f32_e32 v15, v42, v46
	ds_write2_b64 v18, v[4:5], v[13:14] offset1:10
	ds_write_b64 v18, v[6:7] offset:160
	v_add_f32_e32 v7, v43, v47
	v_add_f32_e32 v6, v42, v46
	v_add_f32_e32 v4, v8, v42
	v_add_f32_e32 v5, v9, v43
	v_sub_f32_e32 v13, v43, v47
	v_mul_u32_u24_sdwa v14, v35, v89 dst_sel:DWORD dst_unused:UNUSED_PAD src0_sel:WORD_0 src1_sel:DWORD
	v_fma_f32 v6, -0.5, v6, v8
	v_fma_f32 v7, -0.5, v7, v9
	v_add_f32_e32 v4, v4, v46
	v_add_f32_e32 v5, v5, v47
	v_add_lshl_u32 v14, v14, v40, 3
	v_fmamk_f32 v8, v13, 0x3f5db3d7, v6
	v_fmamk_f32 v9, v15, 0xbf5db3d7, v7
	v_fmac_f32_e32 v6, 0xbf5db3d7, v13
	v_fmac_f32_e32 v7, 0x3f5db3d7, v15
	v_mad_u16 v13, v34, 30, v36
	buffer_store_dword v14, off, s[20:23], 0 offset:472 ; 4-byte Folded Spill
	ds_write2_b64 v14, v[4:5], v[8:9] offset1:10
	v_add_f32_e32 v4, v44, v48
	ds_write_b64 v14, v[6:7] offset:160
	v_add_f32_e32 v5, v10, v44
	v_add_f32_e32 v6, v11, v45
	v_sub_f32_e32 v8, v45, v49
	v_fma_f32 v10, -0.5, v4, v10
	v_sub_f32_e32 v9, v44, v48
	v_add_f32_e32 v4, v5, v48
	v_add_f32_e32 v5, v6, v49
	;; [unrolled: 1-line block ×3, first 2 shown]
	v_lshlrev_b32_sdwa v13, v16, v13 dst_sel:DWORD dst_unused:UNUSED_PAD src0_sel:DWORD src1_sel:WORD_0
	v_fmac_f32_e32 v11, -0.5, v6
	v_fmamk_f32 v6, v8, 0x3f5db3d7, v10
	v_fmac_f32_e32 v10, 0xbf5db3d7, v8
	buffer_store_dword v13, off, s[20:23], 0 offset:468 ; 4-byte Folded Spill
	v_fmamk_f32 v7, v9, 0xbf5db3d7, v11
	v_fmac_f32_e32 v11, 0x3f5db3d7, v9
	ds_write2_b64 v13, v[4:5], v[6:7] offset1:10
	v_add_f32_e32 v7, v55, v59
	v_add_f32_e32 v6, v54, v58
	ds_write_b64 v13, v[10:11] offset:160
	v_add_f32_e32 v4, v20, v54
	v_add_f32_e32 v5, v21, v55
	v_sub_f32_e32 v10, v55, v59
	v_fma_f32 v6, -0.5, v6, v20
	v_fma_f32 v7, -0.5, v7, v21
	v_sub_f32_e32 v11, v54, v58
	v_mad_u16 v13, v50, 30, v52
	v_add_f32_e32 v4, v4, v58
	v_add_f32_e32 v5, v5, v59
	v_fmamk_f32 v8, v10, 0x3f5db3d7, v6
	v_fmamk_f32 v9, v11, 0xbf5db3d7, v7
	v_lshlrev_b32_sdwa v13, v16, v13 dst_sel:DWORD dst_unused:UNUSED_PAD src0_sel:DWORD src1_sel:WORD_0
	v_fmac_f32_e32 v6, 0xbf5db3d7, v10
	v_fmac_f32_e32 v7, 0x3f5db3d7, v11
	v_mad_u16 v10, v51, 30, v53
	v_sub_f32_e32 v11, v66, v70
	ds_write2_b64 v13, v[4:5], v[8:9] offset1:10
	v_add_f32_e32 v4, v56, v60
	ds_write_b64 v13, v[6:7] offset:160
	v_add_f32_e32 v5, v22, v56
	v_add_f32_e32 v6, v23, v57
	v_sub_f32_e32 v8, v57, v61
	v_fma_f32 v22, -0.5, v4, v22
	v_sub_f32_e32 v9, v56, v60
	v_add_f32_e32 v4, v5, v60
	v_add_f32_e32 v5, v6, v61
	;; [unrolled: 1-line block ×3, first 2 shown]
	v_lshlrev_b32_sdwa v10, v16, v10 dst_sel:DWORD dst_unused:UNUSED_PAD src0_sel:DWORD src1_sel:WORD_0
	buffer_store_dword v13, off, s[20:23], 0 offset:464 ; 4-byte Folded Spill
	v_mad_u16 v13, v62, 30, v64
	v_fmac_f32_e32 v23, -0.5, v6
	v_fmamk_f32 v6, v8, 0x3f5db3d7, v22
	v_fmac_f32_e32 v22, 0xbf5db3d7, v8
	buffer_store_dword v10, off, s[20:23], 0 offset:444 ; 4-byte Folded Spill
	v_lshlrev_b32_sdwa v13, v16, v13 dst_sel:DWORD dst_unused:UNUSED_PAD src0_sel:DWORD src1_sel:WORD_0
	v_fmamk_f32 v7, v9, 0xbf5db3d7, v23
	v_fmac_f32_e32 v23, 0x3f5db3d7, v9
	buffer_store_dword v13, off, s[20:23], 0 offset:440 ; 4-byte Folded Spill
	ds_write2_b64 v10, v[4:5], v[6:7] offset1:10
	v_add_f32_e32 v4, v66, v70
	v_add_f32_e32 v5, v67, v71
	;; [unrolled: 1-line block ×3, first 2 shown]
	ds_write_b64 v10, v[22:23] offset:160
	v_sub_f32_e32 v10, v67, v71
	v_fma_f32 v4, -0.5, v4, v24
	v_fma_f32 v5, -0.5, v5, v25
	v_add_f32_e32 v7, v6, v71
	v_add_f32_e32 v6, v24, v66
	v_fmamk_f32 v8, v10, 0x3f5db3d7, v4
	v_fmamk_f32 v9, v11, 0xbf5db3d7, v5
	v_fmac_f32_e32 v4, 0xbf5db3d7, v10
	v_add_f32_e32 v6, v6, v70
	v_fmac_f32_e32 v5, 0x3f5db3d7, v11
	v_mad_u16 v10, v63, 30, v65
	v_sub_f32_e32 v11, v78, v82
	ds_write2_b64 v13, v[6:7], v[8:9] offset1:10
	ds_write_b64 v13, v[4:5] offset:160
	v_add_f32_e32 v4, v68, v72
	v_add_f32_e32 v7, v69, v73
	;; [unrolled: 1-line block ×3, first 2 shown]
	v_sub_f32_e32 v8, v69, v73
	v_sub_f32_e32 v9, v68, v72
	v_fma_f32 v26, -0.5, v4, v26
	v_add_f32_e32 v4, v27, v69
	v_fmac_f32_e32 v27, -0.5, v7
	v_lshlrev_b32_sdwa v10, v16, v10 dst_sel:DWORD dst_unused:UNUSED_PAD src0_sel:DWORD src1_sel:WORD_0
	v_mad_u16 v13, v74, 30, v76
	v_add_f32_e32 v5, v4, v73
	v_add_f32_e32 v4, v6, v72
	v_fmamk_f32 v6, v8, 0x3f5db3d7, v26
	v_fmamk_f32 v7, v9, 0xbf5db3d7, v27
	v_fmac_f32_e32 v26, 0xbf5db3d7, v8
	v_fmac_f32_e32 v27, 0x3f5db3d7, v9
	buffer_store_dword v10, off, s[20:23], 0 offset:436 ; 4-byte Folded Spill
	v_lshlrev_b32_sdwa v13, v16, v13 dst_sel:DWORD dst_unused:UNUSED_PAD src0_sel:DWORD src1_sel:WORD_0
	ds_write2_b64 v10, v[4:5], v[6:7] offset1:10
	v_add_f32_e32 v7, v79, v83
	v_add_f32_e32 v6, v78, v82
	ds_write_b64 v10, v[26:27] offset:160
	v_add_f32_e32 v4, v28, v78
	v_add_f32_e32 v5, v29, v79
	v_sub_f32_e32 v10, v79, v83
	v_fma_f32 v6, -0.5, v6, v28
	v_fma_f32 v7, -0.5, v7, v29
	v_add_f32_e32 v4, v4, v82
	v_add_f32_e32 v5, v5, v83
	buffer_store_dword v13, off, s[20:23], 0 offset:416 ; 4-byte Folded Spill
	v_fmamk_f32 v8, v10, 0x3f5db3d7, v6
	v_fmamk_f32 v9, v11, 0xbf5db3d7, v7
	v_fmac_f32_e32 v6, 0xbf5db3d7, v10
	v_fmac_f32_e32 v7, 0x3f5db3d7, v11
	v_mad_u16 v10, v75, 30, v77
	ds_write2_b64 v13, v[4:5], v[8:9] offset1:10
	v_add_f32_e32 v4, v80, v84
	ds_write_b64 v13, v[6:7] offset:160
	v_add_f32_e32 v6, v30, v80
	v_add_f32_e32 v5, v31, v81
	v_sub_f32_e32 v8, v81, v85
	v_fma_f32 v30, -0.5, v4, v30
	v_add_f32_e32 v4, v81, v85
	v_sub_f32_e32 v9, v80, v84
	v_add_f32_e32 v5, v5, v85
	v_lshlrev_b32_sdwa v10, v16, v10 dst_sel:DWORD dst_unused:UNUSED_PAD src0_sel:DWORD src1_sel:WORD_0
	v_mov_b32_e32 v13, 0x8889
	v_fmac_f32_e32 v31, -0.5, v4
	v_add_f32_e32 v4, v6, v84
	v_fmamk_f32 v6, v8, 0x3f5db3d7, v30
	v_fmac_f32_e32 v30, 0xbf5db3d7, v8
	buffer_store_dword v10, off, s[20:23], 0 offset:412 ; 4-byte Folded Spill
	v_fmamk_f32 v7, v9, 0xbf5db3d7, v31
	v_fmac_f32_e32 v31, 0x3f5db3d7, v9
	v_mov_b32_e32 v85, 0x5a
	ds_write2_b64 v10, v[4:5], v[6:7] offset1:10
	v_mul_lo_u16 v4, 0x89, v12
	v_lshrrev_b16 v7, 12, v3
	ds_write_b64 v10, v[30:31] offset:160
	s_waitcnt lgkmcnt(0)
	s_waitcnt_vscnt null, 0x0
	s_barrier
	v_lshrrev_b16 v15, 12, v4
	v_mul_lo_u16 v3, v7, 30
	buffer_gl0_inv
	v_mul_u32_u24_sdwa v7, v7, v85 dst_sel:DWORD dst_unused:UNUSED_PAD src0_sel:WORD_0 src1_sel:DWORD
	v_mul_lo_u16 v4, v15, 30
	v_sub_nc_u16 v3, v104, v3
	v_mul_u32_u24_sdwa v15, v15, v85 dst_sel:DWORD dst_unused:UNUSED_PAD src0_sel:WORD_0 src1_sel:DWORD
	v_sub_nc_u16 v4, v0, v4
	v_and_b32_e32 v8, 0xff, v3
	v_and_b32_e32 v30, 0xff, v4
	v_lshlrev_b32_e32 v3, 4, v8
	v_add_lshl_u32 v88, v7, v8, 3
	v_lshlrev_b32_e32 v4, 4, v30
	s_clause 0x1
	global_load_dwordx4 v[100:103], v3, s[10:11] offset:160
	global_load_dwordx4 v[96:99], v4, s[10:11] offset:160
	ds_read2_b64 v[3:6], v254 offset0:42 offset1:123
	v_add_lshl_u32 v15, v15, v30, 3
	s_waitcnt vmcnt(1) lgkmcnt(0)
	v_mul_f32_e32 v9, v4, v101
	v_mul_f32_e32 v10, v3, v101
	s_waitcnt vmcnt(0)
	v_mul_f32_e32 v32, v5, v97
	v_fma_f32 v9, v3, v100, -v9
	v_mul_f32_e32 v3, v6, v97
	v_fmac_f32_e32 v10, v4, v100
	v_fmac_f32_e32 v32, v6, v96
	v_fma_f32 v31, v5, v96, -v3
	ds_read2_b64 v[3:6], v242 offset0:84 offset1:165
	s_waitcnt lgkmcnt(0)
	v_mul_f32_e32 v11, v4, v103
	v_mul_f32_e32 v12, v3, v103
	;; [unrolled: 1-line block ×3, first 2 shown]
	v_fma_f32 v11, v3, v102, -v11
	v_mul_f32_e32 v3, v6, v99
	v_fmac_f32_e32 v12, v4, v102
	v_fmac_f32_e32 v34, v6, v98
	v_sub_f32_e32 v84, v9, v11
	v_fma_f32 v33, v5, v98, -v3
	v_mul_u32_u24_sdwa v3, v105, v13 dst_sel:DWORD dst_unused:UNUSED_PAD src0_sel:WORD_0 src1_sel:DWORD
	v_sub_f32_e32 v83, v10, v12
	v_lshrrev_b32_e32 v35, 20, v3
	v_mul_lo_u16 v3, 0x89, v19
	v_lshrrev_b16 v36, 12, v3
	v_mul_lo_u16 v3, v35, 30
	v_sub_nc_u16 v37, v105, v3
	v_mul_lo_u16 v3, v36, 30
	v_lshlrev_b16 v4, 4, v37
	v_sub_nc_u16 v3, v1, v3
	v_and_b32_e32 v4, 0xffff, v4
	v_and_b32_e32 v38, 0xff, v3
	v_add_co_u32 v3, s6, s10, v4
	v_add_co_ci_u32_e64 v4, null, s11, 0, s6
	v_lshlrev_b32_e32 v5, 4, v38
	s_clause 0x1
	global_load_dwordx4 v[108:111], v[3:4], off offset:160
	global_load_dwordx4 v[112:115], v5, s[10:11] offset:160
	ds_read2_b64 v[3:6], v249 offset0:76 offset1:157
	s_waitcnt vmcnt(1) lgkmcnt(0)
	v_mul_f32_e32 v42, v5, v109
	s_waitcnt vmcnt(0)
	v_mul_f32_e32 v14, v4, v113
	v_mul_f32_e32 v40, v3, v113
	v_fmac_f32_e32 v42, v6, v108
	v_fma_f32 v39, v3, v112, -v14
	v_mul_f32_e32 v3, v6, v109
	v_fmac_f32_e32 v40, v4, v112
	v_fma_f32 v41, v5, v108, -v3
	ds_read2_b64 v[3:6], v131 offset0:118 offset1:199
	s_waitcnt lgkmcnt(0)
	v_mul_f32_e32 v14, v4, v115
	v_mul_f32_e32 v44, v3, v115
	;; [unrolled: 1-line block ×3, first 2 shown]
	v_fma_f32 v43, v3, v114, -v14
	v_mul_f32_e32 v3, v6, v111
	v_fmac_f32_e32 v44, v4, v114
	v_fmac_f32_e32 v46, v6, v110
	v_fma_f32 v45, v5, v110, -v3
	v_mul_u32_u24_sdwa v3, v145, v13 dst_sel:DWORD dst_unused:UNUSED_PAD src0_sel:WORD_0 src1_sel:DWORD
	v_lshrrev_b32_e32 v47, 20, v3
	v_mul_u32_u24_sdwa v3, v144, v13 dst_sel:DWORD dst_unused:UNUSED_PAD src0_sel:WORD_0 src1_sel:DWORD
	v_lshrrev_b32_e32 v48, 20, v3
	v_mul_lo_u16 v3, v47, 30
	v_sub_nc_u16 v49, v145, v3
	v_mul_lo_u16 v3, v48, 30
	v_sub_nc_u16 v50, v144, v3
	v_lshlrev_b16 v3, 4, v49
	v_lshlrev_b16 v4, 4, v50
	v_and_b32_e32 v3, 0xffff, v3
	v_and_b32_e32 v5, 0xffff, v4
	v_add_co_u32 v3, s6, s10, v3
	v_add_co_ci_u32_e64 v4, null, s11, 0, s6
	v_add_co_u32 v5, s6, s10, v5
	v_add_co_ci_u32_e64 v6, null, s11, 0, s6
	s_clause 0x1
	global_load_dwordx4 v[124:127], v[3:4], off offset:160
	global_load_dwordx4 v[120:123], v[5:6], off offset:160
	ds_read2_b64 v[3:6], v243 offset0:110 offset1:191
	s_waitcnt vmcnt(1) lgkmcnt(0)
	v_mul_f32_e32 v14, v4, v125
	v_mul_f32_e32 v52, v3, v125
	s_waitcnt vmcnt(0)
	v_mul_f32_e32 v54, v5, v121
	v_fma_f32 v51, v3, v124, -v14
	v_mul_f32_e32 v3, v6, v121
	v_fmac_f32_e32 v52, v4, v124
	v_fmac_f32_e32 v54, v6, v120
	v_fma_f32 v53, v5, v120, -v3
	ds_read2_b64 v[3:6], v245 offset0:152 offset1:233
	s_waitcnt lgkmcnt(0)
	v_mul_f32_e32 v14, v4, v127
	v_mul_f32_e32 v56, v3, v127
	;; [unrolled: 1-line block ×3, first 2 shown]
	v_fma_f32 v55, v3, v126, -v14
	v_mul_f32_e32 v3, v6, v123
	v_fmac_f32_e32 v56, v4, v126
	v_fmac_f32_e32 v58, v6, v122
	v_fma_f32 v57, v5, v122, -v3
	v_mul_u32_u24_sdwa v3, v150, v13 dst_sel:DWORD dst_unused:UNUSED_PAD src0_sel:WORD_0 src1_sel:DWORD
	v_lshrrev_b32_e32 v59, 20, v3
	v_mul_u32_u24_sdwa v3, v149, v13 dst_sel:DWORD dst_unused:UNUSED_PAD src0_sel:WORD_0 src1_sel:DWORD
	v_lshrrev_b32_e32 v60, 20, v3
	v_mul_lo_u16 v3, v59, 30
	v_sub_nc_u16 v61, v150, v3
	v_mul_lo_u16 v3, v60, 30
	v_sub_nc_u16 v62, v149, v3
	v_lshlrev_b16 v3, 4, v61
	v_lshlrev_b16 v4, 4, v62
	v_and_b32_e32 v3, 0xffff, v3
	v_and_b32_e32 v5, 0xffff, v4
	v_add_co_u32 v3, s6, s10, v3
	v_add_co_ci_u32_e64 v4, null, s11, 0, s6
	v_add_co_u32 v5, s6, s10, v5
	v_add_co_ci_u32_e64 v6, null, s11, 0, s6
	s_clause 0x1
	global_load_dwordx4 v[132:135], v[3:4], off offset:160
	global_load_dwordx4 v[128:131], v[5:6], off offset:160
	ds_read2_b64 v[3:6], v253 offset0:16 offset1:97
	s_waitcnt vmcnt(1) lgkmcnt(0)
	v_mul_f32_e32 v14, v4, v133
	v_mul_f32_e32 v64, v3, v133
	s_waitcnt vmcnt(0)
	v_mul_f32_e32 v66, v5, v129
	v_fma_f32 v63, v3, v132, -v14
	v_mul_f32_e32 v3, v6, v129
	v_fmac_f32_e32 v64, v4, v132
	v_fmac_f32_e32 v66, v6, v128
	v_fma_f32 v65, v5, v128, -v3
	ds_read2_b64 v[3:6], v248 offset0:58 offset1:139
	s_waitcnt lgkmcnt(0)
	v_mul_f32_e32 v14, v4, v135
	v_mul_f32_e32 v68, v3, v135
	;; [unrolled: 1-line block ×3, first 2 shown]
	v_fma_f32 v67, v3, v134, -v14
	v_mul_f32_e32 v3, v6, v131
	v_fmac_f32_e32 v68, v4, v134
	v_mul_u32_u24_sdwa v4, v148, v13 dst_sel:DWORD dst_unused:UNUSED_PAD src0_sel:WORD_0 src1_sel:DWORD
	v_fmac_f32_e32 v70, v6, v130
	v_fma_f32 v69, v5, v130, -v3
	v_mul_u32_u24_sdwa v3, v151, v13 dst_sel:DWORD dst_unused:UNUSED_PAD src0_sel:WORD_0 src1_sel:DWORD
	v_lshrrev_b32_e32 v72, 20, v4
	v_lshrrev_b32_e32 v71, 20, v3
	v_mul_lo_u16 v3, v71, 30
	v_sub_nc_u16 v73, v151, v3
	v_mul_lo_u16 v3, v72, 30
	v_sub_nc_u16 v74, v148, v3
	v_lshlrev_b16 v3, 4, v73
	v_lshlrev_b16 v4, 4, v74
	v_and_b32_e32 v3, 0xffff, v3
	v_and_b32_e32 v5, 0xffff, v4
	v_add_co_u32 v3, s6, s10, v3
	v_add_co_ci_u32_e64 v4, null, s11, 0, s6
	v_add_co_u32 v5, s6, s10, v5
	v_add_co_ci_u32_e64 v6, null, s11, 0, s6
	s_clause 0x1
	global_load_dwordx4 v[140:143], v[3:4], off offset:160
	global_load_dwordx4 v[136:139], v[5:6], off offset:160
	ds_read2_b64 v[3:6], v247 offset0:50 offset1:131
	buffer_store_dword v88, off, s[20:23], 0 offset:408 ; 4-byte Folded Spill
	s_waitcnt vmcnt(1) lgkmcnt(0)
	v_mul_f32_e32 v13, v4, v141
	v_mul_f32_e32 v76, v3, v141
	s_waitcnt vmcnt(0)
	v_mul_f32_e32 v78, v5, v137
	v_fma_f32 v75, v3, v140, -v13
	v_mul_f32_e32 v3, v6, v137
	v_fmac_f32_e32 v76, v4, v140
	v_fmac_f32_e32 v78, v6, v136
	v_fma_f32 v77, v5, v136, -v3
	ds_read2_b64 v[3:6], v200 offset0:92 offset1:173
	s_waitcnt lgkmcnt(0)
	v_mul_f32_e32 v13, v4, v143
	v_mul_f32_e32 v80, v3, v143
	;; [unrolled: 1-line block ×3, first 2 shown]
	v_fma_f32 v79, v3, v142, -v13
	v_mul_f32_e32 v3, v6, v139
	v_fmac_f32_e32 v80, v4, v142
	v_fmac_f32_e32 v82, v6, v138
	v_fma_f32 v81, v5, v138, -v3
	ds_read2_b64 v[3:6], v246 offset1:81
	s_waitcnt lgkmcnt(0)
	v_add_f32_e32 v14, v4, v10
	v_add_f32_e32 v10, v10, v12
	;; [unrolled: 1-line block ×5, first 2 shown]
	v_fma_f32 v4, -0.5, v10, v4
	v_add_f32_e32 v17, v13, v11
	v_fma_f32 v3, -0.5, v12, v3
	v_fmamk_f32 v29, v84, 0xbf5db3d7, v4
	v_fmac_f32_e32 v4, 0x3f5db3d7, v84
	ds_read2_b64 v[7:10], v246 offset0:162 offset1:243
	ds_read2_b64 v[11:14], v255 offset0:68 offset1:149
	;; [unrolled: 1-line block ×4, first 2 shown]
	v_fmamk_f32 v28, v83, 0x3f5db3d7, v3
	v_fmac_f32_e32 v3, 0xbf5db3d7, v83
	s_waitcnt lgkmcnt(0)
	s_waitcnt_vscnt null, 0x0
	s_barrier
	buffer_gl0_inv
	ds_write2_b64 v88, v[17:18], v[28:29] offset1:30
	ds_write_b64 v88, v[3:4] offset:480
	v_add_f32_e32 v3, v31, v33
	v_add_f32_e32 v4, v5, v31
	;; [unrolled: 1-line block ×3, first 2 shown]
	v_sub_f32_e32 v28, v32, v34
	v_sub_f32_e32 v29, v31, v33
	v_fma_f32 v5, -0.5, v3, v5
	v_add_f32_e32 v3, v4, v33
	v_add_f32_e32 v4, v17, v34
	;; [unrolled: 1-line block ×3, first 2 shown]
	buffer_store_dword v15, off, s[20:23], 0 offset:404 ; 4-byte Folded Spill
	v_fmac_f32_e32 v6, -0.5, v17
	v_fmamk_f32 v17, v28, 0x3f5db3d7, v5
	v_fmac_f32_e32 v5, 0xbf5db3d7, v28
	v_fmamk_f32 v18, v29, 0xbf5db3d7, v6
	v_fmac_f32_e32 v6, 0x3f5db3d7, v29
	ds_write2_b64 v15, v[3:4], v[17:18] offset1:30
	ds_write_b64 v15, v[5:6] offset:480
	v_add_f32_e32 v6, v40, v44
	v_add_f32_e32 v5, v39, v43
	;; [unrolled: 1-line block ×4, first 2 shown]
	v_sub_f32_e32 v15, v40, v44
	v_mul_u32_u24_sdwa v17, v36, v85 dst_sel:DWORD dst_unused:UNUSED_PAD src0_sel:WORD_0 src1_sel:DWORD
	v_fma_f32 v5, -0.5, v5, v7
	v_fma_f32 v6, -0.5, v6, v8
	v_sub_f32_e32 v18, v39, v43
	v_add_f32_e32 v3, v3, v43
	v_add_f32_e32 v4, v4, v44
	v_add_lshl_u32 v17, v17, v38, 3
	v_fmamk_f32 v7, v15, 0x3f5db3d7, v5
	v_fmamk_f32 v8, v18, 0xbf5db3d7, v6
	v_fmac_f32_e32 v5, 0xbf5db3d7, v15
	v_fmac_f32_e32 v6, 0x3f5db3d7, v18
	v_mad_u16 v15, 0x5a, v35, v37
	buffer_store_dword v17, off, s[20:23], 0 offset:400 ; 4-byte Folded Spill
	ds_write2_b64 v17, v[3:4], v[7:8] offset1:30
	v_add_f32_e32 v3, v41, v45
	ds_write_b64 v17, v[5:6] offset:480
	v_add_f32_e32 v4, v9, v41
	v_add_f32_e32 v5, v10, v42
	v_sub_f32_e32 v7, v42, v46
	v_fma_f32 v9, -0.5, v3, v9
	v_sub_f32_e32 v8, v41, v45
	v_add_f32_e32 v3, v4, v45
	v_add_f32_e32 v4, v5, v46
	;; [unrolled: 1-line block ×3, first 2 shown]
	v_lshlrev_b32_sdwa v15, v16, v15 dst_sel:DWORD dst_unused:UNUSED_PAD src0_sel:DWORD src1_sel:WORD_0
	v_fmac_f32_e32 v10, -0.5, v5
	v_fmamk_f32 v5, v7, 0x3f5db3d7, v9
	v_fmac_f32_e32 v9, 0xbf5db3d7, v7
	buffer_store_dword v15, off, s[20:23], 0 offset:396 ; 4-byte Folded Spill
	v_fmamk_f32 v6, v8, 0xbf5db3d7, v10
	v_fmac_f32_e32 v10, 0x3f5db3d7, v8
	ds_write2_b64 v15, v[3:4], v[5:6] offset1:30
	v_add_f32_e32 v6, v52, v56
	v_add_f32_e32 v5, v51, v55
	ds_write_b64 v15, v[9:10] offset:480
	v_add_f32_e32 v3, v11, v51
	v_add_f32_e32 v4, v12, v52
	v_sub_f32_e32 v9, v52, v56
	v_fma_f32 v5, -0.5, v5, v11
	v_fma_f32 v6, -0.5, v6, v12
	v_sub_f32_e32 v10, v51, v55
	v_mad_u16 v11, 0x5a, v47, v49
	v_add_f32_e32 v3, v3, v55
	v_add_f32_e32 v4, v4, v56
	v_fmamk_f32 v7, v9, 0x3f5db3d7, v5
	v_fmamk_f32 v8, v10, 0xbf5db3d7, v6
	v_lshlrev_b32_sdwa v11, v16, v11 dst_sel:DWORD dst_unused:UNUSED_PAD src0_sel:DWORD src1_sel:WORD_0
	v_fmac_f32_e32 v5, 0xbf5db3d7, v9
	v_fmac_f32_e32 v6, 0x3f5db3d7, v10
	v_mad_u16 v9, 0x5a, v48, v50
	v_sub_f32_e32 v10, v63, v67
	ds_write2_b64 v11, v[3:4], v[7:8] offset1:30
	v_add_f32_e32 v3, v53, v57
	ds_write_b64 v11, v[5:6] offset:480
	v_add_f32_e32 v4, v13, v53
	v_add_f32_e32 v5, v14, v54
	v_sub_f32_e32 v7, v54, v58
	v_fma_f32 v13, -0.5, v3, v13
	v_sub_f32_e32 v8, v53, v57
	v_add_f32_e32 v3, v4, v57
	v_add_f32_e32 v4, v5, v58
	;; [unrolled: 1-line block ×3, first 2 shown]
	v_lshlrev_b32_sdwa v9, v16, v9 dst_sel:DWORD dst_unused:UNUSED_PAD src0_sel:DWORD src1_sel:WORD_0
	buffer_store_dword v11, off, s[20:23], 0 offset:392 ; 4-byte Folded Spill
	v_mad_u16 v11, 0x5a, v59, v61
	v_lshlrev_b32_e32 v15, 4, v92
	v_fmac_f32_e32 v14, -0.5, v5
	v_fmamk_f32 v5, v7, 0x3f5db3d7, v13
	v_fmac_f32_e32 v13, 0xbf5db3d7, v7
	buffer_store_dword v9, off, s[20:23], 0 offset:388 ; 4-byte Folded Spill
	v_lshlrev_b32_sdwa v11, v16, v11 dst_sel:DWORD dst_unused:UNUSED_PAD src0_sel:DWORD src1_sel:WORD_0
	v_fmamk_f32 v6, v8, 0xbf5db3d7, v14
	v_fmac_f32_e32 v14, 0x3f5db3d7, v8
	buffer_store_dword v11, off, s[20:23], 0 offset:384 ; 4-byte Folded Spill
	ds_write2_b64 v9, v[3:4], v[5:6] offset1:30
	v_add_f32_e32 v6, v64, v68
	v_add_f32_e32 v5, v63, v67
	ds_write_b64 v9, v[13:14] offset:480
	v_add_f32_e32 v3, v20, v63
	v_add_f32_e32 v4, v21, v64
	v_sub_f32_e32 v9, v64, v68
	v_fma_f32 v5, -0.5, v5, v20
	v_fma_f32 v6, -0.5, v6, v21
	v_add_f32_e32 v3, v3, v67
	v_add_f32_e32 v4, v4, v68
	v_fmamk_f32 v7, v9, 0x3f5db3d7, v5
	v_fmamk_f32 v8, v10, 0xbf5db3d7, v6
	v_fmac_f32_e32 v5, 0xbf5db3d7, v9
	v_fmac_f32_e32 v6, 0x3f5db3d7, v10
	v_mad_u16 v9, 0x5a, v60, v62
	v_sub_f32_e32 v10, v75, v79
	ds_write2_b64 v11, v[3:4], v[7:8] offset1:30
	v_add_f32_e32 v3, v65, v69
	ds_write_b64 v11, v[5:6] offset:480
	v_add_f32_e32 v4, v22, v65
	v_add_f32_e32 v5, v23, v66
	v_sub_f32_e32 v7, v66, v70
	v_fma_f32 v22, -0.5, v3, v22
	v_sub_f32_e32 v8, v65, v69
	v_add_f32_e32 v3, v4, v69
	v_add_f32_e32 v4, v5, v70
	;; [unrolled: 1-line block ×3, first 2 shown]
	v_lshlrev_b32_sdwa v9, v16, v9 dst_sel:DWORD dst_unused:UNUSED_PAD src0_sel:DWORD src1_sel:WORD_0
	v_mad_u16 v11, 0x5a, v71, v73
	v_fmac_f32_e32 v23, -0.5, v5
	v_fmamk_f32 v5, v7, 0x3f5db3d7, v22
	v_fmac_f32_e32 v22, 0xbf5db3d7, v7
	buffer_store_dword v9, off, s[20:23], 0 offset:380 ; 4-byte Folded Spill
	v_lshlrev_b32_sdwa v11, v16, v11 dst_sel:DWORD dst_unused:UNUSED_PAD src0_sel:DWORD src1_sel:WORD_0
	v_fmamk_f32 v6, v8, 0xbf5db3d7, v23
	v_fmac_f32_e32 v23, 0x3f5db3d7, v8
	buffer_store_dword v11, off, s[20:23], 0 offset:376 ; 4-byte Folded Spill
	ds_write2_b64 v9, v[3:4], v[5:6] offset1:30
	v_add_f32_e32 v6, v76, v80
	v_add_f32_e32 v5, v75, v79
	ds_write_b64 v9, v[22:23] offset:480
	v_add_f32_e32 v3, v24, v75
	v_add_f32_e32 v4, v25, v76
	v_sub_f32_e32 v9, v76, v80
	v_fma_f32 v5, -0.5, v5, v24
	v_fma_f32 v6, -0.5, v6, v25
	v_add_f32_e32 v3, v3, v79
	v_add_f32_e32 v4, v4, v80
	v_fmamk_f32 v7, v9, 0x3f5db3d7, v5
	v_fmamk_f32 v8, v10, 0xbf5db3d7, v6
	v_fmac_f32_e32 v5, 0xbf5db3d7, v9
	v_fmac_f32_e32 v6, 0x3f5db3d7, v10
	v_mad_u16 v9, 0x5a, v72, v74
	ds_write2_b64 v11, v[3:4], v[7:8] offset1:30
	v_add_f32_e32 v3, v77, v81
	ds_write_b64 v11, v[5:6] offset:480
	v_add_f32_e32 v4, v26, v77
	v_add_f32_e32 v5, v27, v78
	v_sub_f32_e32 v7, v78, v82
	v_fma_f32 v26, -0.5, v3, v26
	v_sub_f32_e32 v8, v77, v81
	v_add_f32_e32 v3, v4, v81
	v_add_f32_e32 v4, v5, v82
	;; [unrolled: 1-line block ×3, first 2 shown]
	v_lshlrev_b32_sdwa v9, v16, v9 dst_sel:DWORD dst_unused:UNUSED_PAD src0_sel:DWORD src1_sel:WORD_0
	v_mov_b32_e32 v11, 0x2d83
	v_fmac_f32_e32 v27, -0.5, v5
	v_fmamk_f32 v5, v7, 0x3f5db3d7, v26
	v_fmac_f32_e32 v26, 0xbf5db3d7, v7
	buffer_store_dword v9, off, s[20:23], 0 offset:372 ; 4-byte Folded Spill
	v_fmamk_f32 v6, v8, 0xbf5db3d7, v27
	v_fmac_f32_e32 v27, 0x3f5db3d7, v8
	ds_write2_b64 v9, v[3:4], v[5:6] offset1:30
	v_add_co_u32 v3, s6, v92, -9
	v_add_co_ci_u32_e64 v4, null, 0, -1, s6
	ds_write_b64 v9, v[26:27] offset:480
	v_cndmask_b32_e32 v25, v3, v0, vcc_lo
	s_waitcnt lgkmcnt(0)
	s_waitcnt_vscnt null, 0x0
	v_cndmask_b32_e32 v26, v4, v86, vcc_lo
	s_barrier
	buffer_gl0_inv
	buffer_store_dword v207, off, s[20:23], 0 offset:248 ; 4-byte Folded Spill
	v_lshlrev_b32_e32 v0, 4, v0
	v_lshlrev_b64 v[3:4], 4, v[25:26]
	v_add_co_u32 v3, vcc_lo, s10, v3
	v_add_co_ci_u32_e32 v4, vcc_lo, s11, v4, vcc_lo
	s_clause 0x1
	global_load_dwordx4 v[56:59], v[3:4], off offset:640
	global_load_dwordx4 v[60:63], v15, s[10:11] offset:640
	ds_read2_b64 v[3:6], v254 offset0:42 offset1:123
	v_cmp_lt_u16_e32 vcc_lo, 8, v104
	s_waitcnt vmcnt(1) lgkmcnt(0)
	v_mul_f32_e32 v31, v5, v57
	s_waitcnt vmcnt(0)
	v_mul_f32_e32 v7, v4, v61
	v_mul_f32_e32 v8, v3, v61
	v_fmac_f32_e32 v31, v6, v56
	v_fma_f32 v7, v3, v60, -v7
	v_mul_f32_e32 v3, v6, v57
	v_fmac_f32_e32 v8, v4, v60
	v_fma_f32 v30, v5, v56, -v3
	ds_read2_b64 v[3:6], v242 offset0:84 offset1:165
	s_waitcnt lgkmcnt(0)
	v_mul_f32_e32 v9, v4, v63
	v_mul_f32_e32 v10, v3, v63
	;; [unrolled: 1-line block ×3, first 2 shown]
	v_fma_f32 v9, v3, v62, -v9
	v_fmac_f32_e32 v10, v4, v62
	v_mul_f32_e32 v3, v6, v59
	v_mul_u32_u24_sdwa v4, v105, v11 dst_sel:DWORD dst_unused:UNUSED_PAD src0_sel:WORD_0 src1_sel:DWORD
	v_fmac_f32_e32 v33, v6, v58
	v_sub_f32_e32 v206, v7, v9
	v_sub_f32_e32 v205, v8, v10
	v_fma_f32 v32, v5, v58, -v3
	v_mul_lo_u16 v3, 0xb7, v19
	v_lshrrev_b32_e32 v34, 20, v4
	v_lshrrev_b16 v35, 14, v3
	v_mul_lo_u16 v3, 0x5a, v34
	v_sub_nc_u16 v36, v105, v3
	v_mul_lo_u16 v3, 0x5a, v35
	v_lshlrev_b16 v4, 4, v36
	v_sub_nc_u16 v3, v1, v3
	v_lshlrev_b32_e32 v1, 4, v1
	v_and_b32_e32 v4, 0xffff, v4
	v_and_b32_e32 v37, 0xff, v3
	v_add_co_u32 v3, s6, s10, v4
	v_add_co_ci_u32_e64 v4, null, s11, 0, s6
	v_lshlrev_b32_e32 v5, 4, v37
	s_clause 0x1
	global_load_dwordx4 v[64:67], v[3:4], off offset:640
	global_load_dwordx4 v[68:71], v5, s[10:11] offset:640
	ds_read2_b64 v[3:6], v249 offset0:76 offset1:157
	s_waitcnt vmcnt(1) lgkmcnt(0)
	v_mul_f32_e32 v41, v5, v65
	s_waitcnt vmcnt(0)
	v_mul_f32_e32 v12, v4, v69
	v_mul_f32_e32 v39, v3, v69
	v_fmac_f32_e32 v41, v6, v64
	v_fma_f32 v38, v3, v68, -v12
	v_mul_f32_e32 v3, v6, v65
	v_fmac_f32_e32 v39, v4, v68
	v_fma_f32 v40, v5, v64, -v3
	ds_read2_b64 v[3:6], v87 offset0:118 offset1:199
	s_waitcnt lgkmcnt(0)
	v_mul_f32_e32 v12, v4, v71
	v_mul_f32_e32 v43, v3, v71
	;; [unrolled: 1-line block ×3, first 2 shown]
	v_fma_f32 v42, v3, v70, -v12
	v_mul_f32_e32 v3, v6, v67
	v_fmac_f32_e32 v43, v4, v70
	v_fmac_f32_e32 v45, v6, v66
	v_fma_f32 v44, v5, v66, -v3
	v_mul_u32_u24_sdwa v3, v145, v11 dst_sel:DWORD dst_unused:UNUSED_PAD src0_sel:WORD_0 src1_sel:DWORD
	v_lshrrev_b32_e32 v46, 20, v3
	v_mul_u32_u24_sdwa v3, v144, v11 dst_sel:DWORD dst_unused:UNUSED_PAD src0_sel:WORD_0 src1_sel:DWORD
	v_lshrrev_b32_e32 v47, 20, v3
	v_mul_lo_u16 v3, 0x5a, v46
	v_sub_nc_u16 v48, v145, v3
	v_mul_lo_u16 v3, 0x5a, v47
	v_sub_nc_u16 v49, v144, v3
	v_lshlrev_b16 v3, 4, v48
	v_lshlrev_b16 v4, 4, v49
	v_and_b32_e32 v3, 0xffff, v3
	v_and_b32_e32 v5, 0xffff, v4
	v_add_co_u32 v3, s6, s10, v3
	v_add_co_ci_u32_e64 v4, null, s11, 0, s6
	v_add_co_u32 v5, s6, s10, v5
	v_add_co_ci_u32_e64 v6, null, s11, 0, s6
	s_clause 0x1
	global_load_dwordx4 v[76:79], v[3:4], off offset:640
	global_load_dwordx4 v[72:75], v[5:6], off offset:640
	ds_read2_b64 v[3:6], v243 offset0:110 offset1:191
	s_waitcnt vmcnt(1) lgkmcnt(0)
	v_mul_f32_e32 v12, v4, v77
	v_mul_f32_e32 v51, v3, v77
	s_waitcnt vmcnt(0)
	v_mul_f32_e32 v53, v5, v73
	v_fma_f32 v50, v3, v76, -v12
	v_mul_f32_e32 v3, v6, v73
	v_fmac_f32_e32 v51, v4, v76
	v_fmac_f32_e32 v53, v6, v72
	v_fma_f32 v52, v5, v72, -v3
	ds_read2_b64 v[3:6], v245 offset0:152 offset1:233
	s_waitcnt lgkmcnt(0)
	v_mul_f32_e32 v12, v4, v79
	v_mul_f32_e32 v55, v3, v79
	;; [unrolled: 1-line block ×3, first 2 shown]
	v_fma_f32 v54, v3, v78, -v12
	v_mul_f32_e32 v3, v6, v75
	v_fmac_f32_e32 v55, v4, v78
	v_fmac_f32_e32 v107, v6, v74
	v_fma_f32 v106, v5, v74, -v3
	v_mul_u32_u24_sdwa v3, v150, v11 dst_sel:DWORD dst_unused:UNUSED_PAD src0_sel:WORD_0 src1_sel:DWORD
	v_lshrrev_b32_e32 v116, 20, v3
	v_mul_u32_u24_sdwa v3, v149, v11 dst_sel:DWORD dst_unused:UNUSED_PAD src0_sel:WORD_0 src1_sel:DWORD
	v_lshrrev_b32_e32 v117, 20, v3
	v_mul_lo_u16 v3, 0x5a, v116
	v_sub_nc_u16 v118, v150, v3
	v_mul_lo_u16 v3, 0x5a, v117
	v_sub_nc_u16 v119, v149, v3
	v_lshlrev_b16 v3, 4, v118
	v_lshlrev_b16 v4, 4, v119
	v_and_b32_e32 v3, 0xffff, v3
	v_and_b32_e32 v5, 0xffff, v4
	v_add_co_u32 v3, s6, s10, v3
	v_add_co_ci_u32_e64 v4, null, s11, 0, s6
	v_add_co_u32 v5, s6, s10, v5
	v_add_co_ci_u32_e64 v6, null, s11, 0, s6
	s_clause 0x1
	global_load_dwordx4 v[84:87], v[3:4], off offset:640
	global_load_dwordx4 v[80:83], v[5:6], off offset:640
	ds_read2_b64 v[3:6], v253 offset0:16 offset1:97
	s_waitcnt vmcnt(1) lgkmcnt(0)
	v_mul_f32_e32 v12, v4, v85
	v_mul_f32_e32 v147, v3, v85
	s_waitcnt vmcnt(0)
	v_mul_f32_e32 v153, v5, v81
	v_fma_f32 v146, v3, v84, -v12
	v_mul_f32_e32 v3, v6, v81
	v_fmac_f32_e32 v147, v4, v84
	v_fmac_f32_e32 v153, v6, v80
	v_fma_f32 v152, v5, v80, -v3
	ds_read2_b64 v[3:6], v248 offset0:58 offset1:139
	s_waitcnt lgkmcnt(0)
	v_mul_f32_e32 v12, v4, v87
	v_mul_f32_e32 v155, v3, v87
	;; [unrolled: 1-line block ×3, first 2 shown]
	v_fma_f32 v154, v3, v86, -v12
	v_mul_f32_e32 v3, v6, v83
	v_fmac_f32_e32 v155, v4, v86
	v_mul_u32_u24_sdwa v4, v151, v11 dst_sel:DWORD dst_unused:UNUSED_PAD src0_sel:WORD_0 src1_sel:DWORD
	v_fmac_f32_e32 v157, v6, v82
	v_fma_f32 v156, v5, v82, -v3
	v_mul_u32_u24_sdwa v3, v148, v11 dst_sel:DWORD dst_unused:UNUSED_PAD src0_sel:WORD_0 src1_sel:DWORD
	v_lshrrev_b32_e32 v158, 20, v4
	v_lshrrev_b32_e32 v3, 20, v3
	v_mul_lo_u16 v4, 0x5a, v158
	v_mul_lo_u16 v3, 0x5a, v3
	v_sub_nc_u16 v159, v151, v4
	v_sub_nc_u16 v160, v148, v3
	v_lshlrev_b16 v3, 4, v159
	v_lshlrev_b16 v4, 4, v160
	v_and_b32_e32 v3, 0xffff, v3
	v_and_b32_e32 v5, 0xffff, v4
	v_add_co_u32 v3, s6, s10, v3
	v_add_co_ci_u32_e64 v4, null, s11, 0, s6
	v_add_co_u32 v5, s6, s10, v5
	v_add_co_ci_u32_e64 v6, null, s11, 0, s6
	s_clause 0x1
	global_load_dwordx4 v[92:95], v[3:4], off offset:640
	global_load_dwordx4 v[88:91], v[5:6], off offset:640
	ds_read2_b64 v[3:6], v247 offset0:50 offset1:131
	s_waitcnt vmcnt(1) lgkmcnt(0)
	v_mul_f32_e32 v11, v4, v93
	v_mul_f32_e32 v162, v3, v93
	s_waitcnt vmcnt(0)
	v_mul_f32_e32 v164, v5, v89
	v_fma_f32 v161, v3, v92, -v11
	v_mul_f32_e32 v3, v6, v89
	v_fmac_f32_e32 v162, v4, v92
	v_fmac_f32_e32 v164, v6, v88
	v_fma_f32 v163, v5, v88, -v3
	ds_read2_b64 v[3:6], v200 offset0:92 offset1:173
	s_waitcnt lgkmcnt(0)
	v_mul_f32_e32 v11, v4, v95
	v_mul_f32_e32 v166, v3, v95
	;; [unrolled: 1-line block ×3, first 2 shown]
	v_fma_f32 v165, v3, v94, -v11
	v_mul_f32_e32 v3, v6, v91
	v_fmac_f32_e32 v166, v4, v94
	v_fmac_f32_e32 v204, v6, v90
	v_fma_f32 v167, v5, v90, -v3
	ds_read2_b64 v[3:6], v246 offset1:81
	s_waitcnt lgkmcnt(0)
	v_add_f32_e32 v12, v4, v8
	v_add_f32_e32 v8, v8, v10
	;; [unrolled: 1-line block ×5, first 2 shown]
	v_fma_f32 v4, -0.5, v8, v4
	v_add_f32_e32 v26, v11, v9
	v_fma_f32 v3, -0.5, v10, v3
	v_fmamk_f32 v29, v206, 0xbf5db3d7, v4
	v_fmac_f32_e32 v4, 0x3f5db3d7, v206
	ds_read2_b64 v[7:10], v246 offset0:162 offset1:243
	ds_read2_b64 v[11:14], v255 offset0:68 offset1:149
	;; [unrolled: 1-line block ×4, first 2 shown]
	v_fmamk_f32 v28, v205, 0x3f5db3d7, v3
	v_fmac_f32_e32 v3, 0xbf5db3d7, v205
	s_waitcnt lgkmcnt(0)
	s_waitcnt_vscnt null, 0x0
	s_barrier
	buffer_gl0_inv
	ds_write2_b64 v246, v[26:27], v[28:29] offset1:90
	ds_write_b64 v246, v[3:4] offset:1440
	v_cndmask_b32_e64 v3, 0, 0x10e, vcc_lo
	v_add_f32_e32 v4, v5, v30
	v_sub_f32_e32 v27, v31, v33
	v_sub_f32_e32 v28, v30, v32
	v_add_lshl_u32 v29, v25, v3, 3
	v_add_f32_e32 v3, v30, v32
	v_add_f32_e32 v25, v6, v31
	buffer_store_dword v29, off, s[20:23], 0 offset:352 ; 4-byte Folded Spill
	v_fma_f32 v5, -0.5, v3, v5
	v_add_f32_e32 v3, v4, v32
	v_add_f32_e32 v4, v25, v33
	;; [unrolled: 1-line block ×3, first 2 shown]
	v_fmac_f32_e32 v6, -0.5, v25
	v_fmamk_f32 v25, v27, 0x3f5db3d7, v5
	v_fmac_f32_e32 v5, 0xbf5db3d7, v27
	v_sub_f32_e32 v27, v38, v42
	v_fmamk_f32 v26, v28, 0xbf5db3d7, v6
	v_fmac_f32_e32 v6, 0x3f5db3d7, v28
	ds_write2_b64 v29, v[3:4], v[25:26] offset1:90
	ds_write_b64 v29, v[5:6] offset:1440
	v_mov_b32_e32 v5, 0x10e
	v_add_f32_e32 v6, v39, v43
	v_add_f32_e32 v3, v7, v38
	;; [unrolled: 1-line block ×3, first 2 shown]
	v_sub_f32_e32 v25, v39, v43
	v_mul_u32_u24_sdwa v26, v35, v5 dst_sel:DWORD dst_unused:UNUSED_PAD src0_sel:WORD_0 src1_sel:DWORD
	v_add_f32_e32 v5, v38, v42
	v_fma_f32 v6, -0.5, v6, v8
	v_add_f32_e32 v3, v3, v42
	v_add_f32_e32 v4, v4, v43
	v_add_lshl_u32 v26, v26, v37, 3
	v_fma_f32 v5, -0.5, v5, v7
	v_fmamk_f32 v8, v27, 0xbf5db3d7, v6
	v_fmac_f32_e32 v6, 0x3f5db3d7, v27
	buffer_store_dword v26, off, s[20:23], 0 offset:348 ; 4-byte Folded Spill
	v_fmamk_f32 v7, v25, 0x3f5db3d7, v5
	v_fmac_f32_e32 v5, 0xbf5db3d7, v25
	v_mad_u16 v25, 0x10e, v34, v36
	ds_write2_b64 v26, v[3:4], v[7:8] offset1:90
	ds_write_b64 v26, v[5:6] offset:1440
	v_add_f32_e32 v3, v40, v44
	v_add_f32_e32 v4, v9, v40
	;; [unrolled: 1-line block ×3, first 2 shown]
	v_sub_f32_e32 v7, v41, v45
	v_sub_f32_e32 v8, v40, v44
	v_fma_f32 v9, -0.5, v3, v9
	v_add_f32_e32 v3, v4, v44
	v_add_f32_e32 v4, v5, v45
	;; [unrolled: 1-line block ×3, first 2 shown]
	v_lshlrev_b32_sdwa v25, v16, v25 dst_sel:DWORD dst_unused:UNUSED_PAD src0_sel:DWORD src1_sel:WORD_0
	v_fmac_f32_e32 v10, -0.5, v5
	v_fmamk_f32 v5, v7, 0x3f5db3d7, v9
	v_fmac_f32_e32 v9, 0xbf5db3d7, v7
	buffer_store_dword v25, off, s[20:23], 0 offset:344 ; 4-byte Folded Spill
	v_fmamk_f32 v6, v8, 0xbf5db3d7, v10
	v_fmac_f32_e32 v10, 0x3f5db3d7, v8
	ds_write2_b64 v25, v[3:4], v[5:6] offset1:90
	v_add_f32_e32 v6, v51, v55
	v_add_f32_e32 v5, v50, v54
	ds_write_b64 v25, v[9:10] offset:1440
	v_add_f32_e32 v3, v11, v50
	v_add_f32_e32 v4, v12, v51
	v_sub_f32_e32 v9, v51, v55
	v_fma_f32 v5, -0.5, v5, v11
	v_fma_f32 v6, -0.5, v6, v12
	v_sub_f32_e32 v10, v50, v54
	v_mad_u16 v11, 0x10e, v46, v48
	v_add_f32_e32 v3, v3, v54
	v_add_f32_e32 v4, v4, v55
	v_fmamk_f32 v7, v9, 0x3f5db3d7, v5
	v_fmamk_f32 v8, v10, 0xbf5db3d7, v6
	v_lshlrev_b32_sdwa v11, v16, v11 dst_sel:DWORD dst_unused:UNUSED_PAD src0_sel:DWORD src1_sel:WORD_0
	v_fmac_f32_e32 v5, 0xbf5db3d7, v9
	v_fmac_f32_e32 v6, 0x3f5db3d7, v10
	v_mad_u16 v9, 0x10e, v47, v49
	v_sub_f32_e32 v10, v146, v154
	ds_write2_b64 v11, v[3:4], v[7:8] offset1:90
	v_add_f32_e32 v3, v52, v106
	ds_write_b64 v11, v[5:6] offset:1440
	v_add_f32_e32 v4, v13, v52
	v_add_f32_e32 v5, v14, v53
	v_sub_f32_e32 v7, v53, v107
	v_fma_f32 v13, -0.5, v3, v13
	v_sub_f32_e32 v8, v52, v106
	v_add_f32_e32 v3, v4, v106
	v_add_f32_e32 v4, v5, v107
	;; [unrolled: 1-line block ×3, first 2 shown]
	v_lshlrev_b32_sdwa v9, v16, v9 dst_sel:DWORD dst_unused:UNUSED_PAD src0_sel:DWORD src1_sel:WORD_0
	buffer_store_dword v11, off, s[20:23], 0 offset:340 ; 4-byte Folded Spill
	v_mad_u16 v11, 0x10e, v116, v118
	v_fmac_f32_e32 v14, -0.5, v5
	v_fmamk_f32 v5, v7, 0x3f5db3d7, v13
	v_fmac_f32_e32 v13, 0xbf5db3d7, v7
	buffer_store_dword v9, off, s[20:23], 0 offset:336 ; 4-byte Folded Spill
	v_lshlrev_b32_sdwa v11, v16, v11 dst_sel:DWORD dst_unused:UNUSED_PAD src0_sel:DWORD src1_sel:WORD_0
	v_fmamk_f32 v6, v8, 0xbf5db3d7, v14
	v_fmac_f32_e32 v14, 0x3f5db3d7, v8
	buffer_store_dword v11, off, s[20:23], 0 offset:332 ; 4-byte Folded Spill
	ds_write2_b64 v9, v[3:4], v[5:6] offset1:90
	v_add_f32_e32 v6, v147, v155
	v_add_f32_e32 v5, v146, v154
	ds_write_b64 v9, v[13:14] offset:1440
	v_add_f32_e32 v3, v17, v146
	v_add_f32_e32 v4, v18, v147
	v_sub_f32_e32 v9, v147, v155
	v_fma_f32 v5, -0.5, v5, v17
	v_fma_f32 v6, -0.5, v6, v18
	v_add_f32_e32 v3, v3, v154
	v_add_f32_e32 v4, v4, v155
	v_fmamk_f32 v7, v9, 0x3f5db3d7, v5
	v_fmamk_f32 v8, v10, 0xbf5db3d7, v6
	v_fmac_f32_e32 v5, 0xbf5db3d7, v9
	v_fmac_f32_e32 v6, 0x3f5db3d7, v10
	v_mad_u16 v9, 0x10e, v117, v119
	v_sub_f32_e32 v10, v161, v165
	ds_write2_b64 v11, v[3:4], v[7:8] offset1:90
	v_add_f32_e32 v3, v152, v156
	ds_write_b64 v11, v[5:6] offset:1440
	v_add_f32_e32 v4, v19, v152
	v_add_f32_e32 v5, v20, v153
	v_sub_f32_e32 v7, v153, v157
	v_fma_f32 v19, -0.5, v3, v19
	v_sub_f32_e32 v8, v152, v156
	v_add_f32_e32 v3, v4, v156
	v_add_f32_e32 v4, v5, v157
	;; [unrolled: 1-line block ×3, first 2 shown]
	v_lshlrev_b32_sdwa v9, v16, v9 dst_sel:DWORD dst_unused:UNUSED_PAD src0_sel:DWORD src1_sel:WORD_0
	v_mad_u16 v11, 0x10e, v158, v159
	v_fmac_f32_e32 v20, -0.5, v5
	v_fmamk_f32 v5, v7, 0x3f5db3d7, v19
	v_fmac_f32_e32 v19, 0xbf5db3d7, v7
	buffer_store_dword v9, off, s[20:23], 0 offset:328 ; 4-byte Folded Spill
	v_lshlrev_b32_sdwa v11, v16, v11 dst_sel:DWORD dst_unused:UNUSED_PAD src0_sel:DWORD src1_sel:WORD_0
	v_fmamk_f32 v6, v8, 0xbf5db3d7, v20
	v_fmac_f32_e32 v20, 0x3f5db3d7, v8
	buffer_store_dword v11, off, s[20:23], 0 offset:304 ; 4-byte Folded Spill
	ds_write2_b64 v9, v[3:4], v[5:6] offset1:90
	v_add_f32_e32 v6, v162, v166
	v_add_f32_e32 v5, v161, v165
	ds_write_b64 v9, v[19:20] offset:1440
	v_add_f32_e32 v3, v21, v161
	v_add_f32_e32 v4, v22, v162
	v_sub_f32_e32 v9, v162, v166
	v_fma_f32 v5, -0.5, v5, v21
	v_fma_f32 v6, -0.5, v6, v22
	v_add_f32_e32 v3, v3, v165
	v_add_f32_e32 v4, v4, v166
	v_fmamk_f32 v7, v9, 0x3f5db3d7, v5
	v_fmamk_f32 v8, v10, 0xbf5db3d7, v6
	v_fmac_f32_e32 v5, 0xbf5db3d7, v9
	v_fmac_f32_e32 v6, 0x3f5db3d7, v10
	v_lshlrev_b32_sdwa v9, v16, v160 dst_sel:DWORD dst_unused:UNUSED_PAD src0_sel:DWORD src1_sel:WORD_0
	ds_write2_b64 v11, v[3:4], v[7:8] offset1:90
	v_add_f32_e32 v3, v163, v167
	ds_write_b64 v11, v[5:6] offset:1440
	v_add_f32_e32 v4, v23, v163
	v_add_f32_e32 v5, v24, v164
	v_sub_f32_e32 v7, v164, v204
	v_fma_f32 v23, -0.5, v3, v23
	v_sub_f32_e32 v8, v163, v167
	v_add_f32_e32 v3, v4, v167
	v_add_f32_e32 v4, v5, v204
	;; [unrolled: 1-line block ×3, first 2 shown]
	v_add_nc_u32_e32 v10, 0x4000, v9
	buffer_store_dword v9, off, s[20:23], 0 offset:292 ; 4-byte Folded Spill
	v_fmac_f32_e32 v24, -0.5, v5
	v_fmamk_f32 v5, v7, 0x3f5db3d7, v23
	v_fmac_f32_e32 v23, 0xbf5db3d7, v7
	buffer_store_dword v10, off, s[20:23], 0 offset:296 ; 4-byte Folded Spill
	v_fmamk_f32 v6, v8, 0xbf5db3d7, v24
	v_fmac_f32_e32 v24, 0x3f5db3d7, v8
	ds_write2_b64 v10, v[3:4], v[5:6] offset0:112 offset1:202
	v_add_co_u32 v3, s6, s10, v15
	v_add_co_ci_u32_e64 v12, null, s11, 0, s6
	ds_write_b64 v9, v[23:24] offset:18720
	v_add_co_u32 v4, vcc_lo, 0x800, v3
	v_add_co_ci_u32_e32 v5, vcc_lo, 0, v12, vcc_lo
	s_waitcnt lgkmcnt(0)
	s_waitcnt_vscnt null, 0x0
	s_barrier
	buffer_gl0_inv
	s_clause 0x1
	global_load_dwordx4 v[17:20], v[4:5], off offset:32
	global_load_dwordx4 v[238:241], v[4:5], off offset:896
	ds_read2_b64 v[4:7], v254 offset0:42 offset1:123
	s_waitcnt vmcnt(1)
	buffer_store_dword v17, off, s[20:23], 0 offset:356 ; 4-byte Folded Spill
	buffer_store_dword v18, off, s[20:23], 0 offset:360 ; 4-byte Folded Spill
	buffer_store_dword v19, off, s[20:23], 0 offset:364 ; 4-byte Folded Spill
	buffer_store_dword v20, off, s[20:23], 0 offset:368 ; 4-byte Folded Spill
	v_add_co_u32 v0, s6, s10, v0
	v_add_co_ci_u32_e64 v13, null, s11, 0, s6
	v_add_co_u32 v106, s6, s10, v1
	v_add_co_ci_u32_e64 v107, null, s11, 0, s6
	s_waitcnt lgkmcnt(0)
	v_mul_f32_e32 v8, v5, v18
	v_mul_f32_e32 v24, v4, v18
	v_fma_f32 v23, v4, v17, -v8
	v_add_co_u32 v8, vcc_lo, 0x800, v0
	v_add_co_ci_u32_e32 v9, vcc_lo, 0, v13, vcc_lo
	v_add_co_u32 v4, vcc_lo, 0x800, v106
	v_fmac_f32_e32 v24, v5, v17
	v_add_co_ci_u32_e32 v5, vcc_lo, 0, v107, vcc_lo
	s_clause 0x1
	global_load_dwordx4 v[44:47], v[8:9], off offset:32
	global_load_dwordx4 v[36:39], v[4:5], off offset:32
	v_cmp_gt_u16_e32 vcc_lo, 27, v104
	s_waitcnt vmcnt(1)
	v_mul_f32_e32 v1, v7, v45
	v_mul_f32_e32 v229, v6, v45
	v_fma_f32 v228, v6, v44, -v1
	v_fmac_f32_e32 v229, v7, v44
	ds_read2_b64 v[4:7], v242 offset0:84 offset1:165
	s_waitcnt lgkmcnt(0)
	v_mul_f32_e32 v1, v5, v20
	v_mul_f32_e32 v26, v4, v20
	;; [unrolled: 1-line block ×3, first 2 shown]
	v_fma_f32 v25, v4, v19, -v1
	v_mul_f32_e32 v1, v7, v47
	v_fmac_f32_e32 v26, v5, v19
	v_fmac_f32_e32 v231, v7, v46
	v_sub_f32_e32 v237, v23, v25
	v_fma_f32 v230, v6, v46, -v1
	v_add_co_u32 v1, s6, 0xffffffe5, v207
	v_add_co_ci_u32_e64 v4, null, 0, -1, s6
	v_cndmask_b32_e32 v1, v1, v105, vcc_lo
	v_cndmask_b32_e32 v2, v4, v2, vcc_lo
	v_lshlrev_b64 v[4:5], 4, v[1:2]
	v_add_co_u32 v2, vcc_lo, s10, v4
	v_add_co_ci_u32_e32 v4, vcc_lo, s11, v5, vcc_lo
	v_add_co_u32 v8, vcc_lo, 0x800, v2
	v_mov_b32_e32 v2, 0x795d
	v_add_co_ci_u32_e32 v9, vcc_lo, 0, v4, vcc_lo
	v_mul_u32_u24_sdwa v4, v150, v2 dst_sel:DWORD dst_unused:UNUSED_PAD src0_sel:WORD_0 src1_sel:DWORD
	v_lshrrev_b32_e32 v232, 23, v4
	v_mul_lo_u16 v4, 0x10e, v232
	v_sub_nc_u16 v233, v150, v4
	v_lshlrev_b16 v4, 4, v233
	v_and_b32_e32 v4, 0xffff, v4
	v_add_co_u32 v4, s6, s10, v4
	v_add_co_ci_u32_e64 v5, null, s11, 0, s6
	v_add_co_u32 v10, vcc_lo, 0x800, v4
	v_mul_u32_u24_sdwa v4, v149, v2 dst_sel:DWORD dst_unused:UNUSED_PAD src0_sel:WORD_0 src1_sel:DWORD
	v_add_co_ci_u32_e32 v11, vcc_lo, 0, v5, vcc_lo
	v_lshrrev_b32_e32 v4, 23, v4
	v_mul_lo_u16 v4, 0x10e, v4
	v_sub_nc_u16 v234, v149, v4
	v_lshlrev_b16 v4, 4, v234
	v_and_b32_e32 v4, 0xffff, v4
	v_add_co_u32 v4, s6, s10, v4
	v_add_co_ci_u32_e64 v5, null, s11, 0, s6
	v_add_co_u32 v14, vcc_lo, 0x800, v4
	v_mul_u32_u24_sdwa v4, v151, v2 dst_sel:DWORD dst_unused:UNUSED_PAD src0_sel:WORD_0 src1_sel:DWORD
	v_mul_u32_u24_sdwa v2, v148, v2 dst_sel:DWORD dst_unused:UNUSED_PAD src0_sel:WORD_0 src1_sel:DWORD
	v_add_co_ci_u32_e32 v15, vcc_lo, 0, v5, vcc_lo
	v_lshrrev_b32_e32 v4, 23, v4
	v_lshrrev_b32_e32 v2, 23, v2
	v_mul_lo_u16 v4, 0x10e, v4
	v_mul_lo_u16 v2, 0x10e, v2
	v_sub_nc_u16 v235, v151, v4
	v_sub_nc_u16 v236, v148, v2
	v_lshlrev_b16 v4, 4, v235
	v_lshlrev_b16 v2, 4, v236
	v_and_b32_e32 v4, 0xffff, v4
	v_and_b32_e32 v2, 0xffff, v2
	v_add_co_u32 v4, s6, s10, v4
	v_add_co_ci_u32_e64 v5, null, s11, 0, s6
	v_add_co_u32 v2, s6, s10, v2
	v_add_co_u32 v17, vcc_lo, 0x800, v4
	v_add_co_ci_u32_e64 v4, null, s11, 0, s6
	v_add_co_ci_u32_e32 v18, vcc_lo, 0, v5, vcc_lo
	v_add_co_u32 v19, vcc_lo, 0x800, v2
	v_add_co_ci_u32_e32 v20, vcc_lo, 0, v4, vcc_lo
	ds_read2_b64 v[4:7], v246 offset1:81
	s_waitcnt lgkmcnt(0)
	v_add_f32_e32 v2, v4, v23
	v_add_f32_e32 v22, v5, v24
	;; [unrolled: 1-line block ×4, first 2 shown]
	v_sub_f32_e32 v2, v24, v26
	v_add_f32_e32 v24, v24, v26
	v_add_f32_e32 v26, v23, v25
	v_add_co_u32 v23, vcc_lo, 0x1000, v3
	v_fma_f32 v5, -0.5, v24, v5
	v_fma_f32 v4, -0.5, v26, v4
	v_add_co_ci_u32_e32 v24, vcc_lo, 0, v12, vcc_lo
	s_clause 0x5
	global_load_dwordx4 v[52:55], v[8:9], off offset:32
	global_load_dwordx4 v[48:51], v[23:24], off offset:144
	;; [unrolled: 1-line block ×6, first 2 shown]
	v_fmamk_f32 v146, v2, 0x3f5db3d7, v4
	v_fmamk_f32 v147, v237, 0xbf5db3d7, v5
	ds_read2_b64 v[8:11], v246 offset0:162 offset1:243
	ds_read2_b64 v[116:119], v249 offset0:76 offset1:157
	ds_read2_b64 v[152:155], v252 offset0:118 offset1:199
	ds_read2_b64 v[156:159], v255 offset0:68 offset1:149
	ds_read2_b64 v[160:163], v243 offset0:110 offset1:191
	ds_read2_b64 v[164:167], v245 offset0:152 offset1:233
	ds_read2_b64 v[204:207], v208 offset0:102 offset1:183
	ds_read2_b64 v[208:211], v253 offset0:16 offset1:97
	ds_read2_b64 v[212:215], v248 offset0:58 offset1:139
	ds_read2_b64 v[216:219], v244 offset0:136 offset1:217
	ds_read2_b64 v[220:223], v247 offset0:50 offset1:131
	ds_read2_b64 v[224:227], v200 offset0:92 offset1:173
	v_fmac_f32_e32 v4, 0xbf5db3d7, v2
	v_fmac_f32_e32 v5, 0x3f5db3d7, v237
	s_waitcnt vmcnt(0) lgkmcnt(0)
	s_waitcnt_vscnt null, 0x0
	s_barrier
	buffer_gl0_inv
	v_add_f32_e32 v2, v6, v228
	ds_write_b64 v246, v[4:5] offset:4320
	v_add_f32_e32 v5, v7, v229
	ds_write_b64 v246, v[146:147] offset:2160
	v_mul_f32_e32 v14, v116, v37
	v_add_f32_e32 v4, v2, v230
	v_mul_f32_e32 v2, v117, v37
	v_add_f32_e32 v5, v5, v231
	v_mul_f32_e32 v17, v152, v39
	v_fmac_f32_e32 v14, v117, v36
	v_add_f32_e32 v18, v229, v231
	v_fma_f32 v2, v116, v36, -v2
	ds_write2_b64 v246, v[21:22], v[4:5] offset1:81
	v_mul_f32_e32 v4, v153, v39
	v_fmac_f32_e32 v17, v153, v38
	v_add_f32_e32 v5, v9, v14
	v_fmac_f32_e32 v7, -0.5, v18
	v_sub_f32_e32 v18, v228, v230
	v_fma_f32 v15, v152, v38, -v4
	v_add_f32_e32 v4, v8, v2
	v_add_f32_e32 v5, v5, v17
	v_sub_f32_e32 v19, v14, v17
	v_cmp_lt_u16_e32 vcc_lo, 26, v104
	v_add_f32_e32 v4, v4, v15
	ds_write_b64 v246, v[4:5] offset:1296
	v_add_f32_e32 v4, v228, v230
	v_sub_f32_e32 v5, v229, v231
	v_fma_f32 v6, -0.5, v4, v6
	v_fmamk_f32 v4, v5, 0x3f5db3d7, v6
	v_fmac_f32_e32 v6, 0xbf5db3d7, v5
	v_add_f32_e32 v5, v14, v17
	v_add_f32_e32 v14, v2, v15
	v_sub_f32_e32 v2, v2, v15
	v_fma_f32 v9, -0.5, v5, v9
	v_fma_f32 v8, -0.5, v14, v8
	v_fmamk_f32 v5, v18, 0xbf5db3d7, v7
	v_fmac_f32_e32 v7, 0x3f5db3d7, v18
	v_fmamk_f32 v15, v2, 0xbf5db3d7, v9
	v_fmamk_f32 v14, v19, 0x3f5db3d7, v8
	v_fmac_f32_e32 v8, 0xbf5db3d7, v19
	v_fmac_f32_e32 v9, 0x3f5db3d7, v2
	ds_write2_b64 v244, v[6:7], v[8:9] offset0:109 offset1:190
	buffer_store_dword v238, off, s[20:23], 0 offset:420 ; 4-byte Folded Spill
	buffer_store_dword v239, off, s[20:23], 0 offset:424 ; 4-byte Folded Spill
	;; [unrolled: 1-line block ×4, first 2 shown]
	ds_write2_b64 v255, v[4:5], v[14:15] offset0:95 offset1:176
	v_cndmask_b32_e64 v4, 0, 0x32a, vcc_lo
	v_add_lshl_u32 v14, v1, v4, 3
	buffer_store_dword v14, off, s[20:23], 0 offset:264 ; 4-byte Folded Spill
	v_mul_f32_e32 v2, v119, v53
	v_mul_f32_e32 v7, v155, v55
	;; [unrolled: 1-line block ×5, first 2 shown]
	v_fma_f32 v2, v118, v52, -v2
	v_fma_f32 v7, v154, v54, -v7
	v_fmac_f32_e32 v6, v119, v52
	v_fmac_f32_e32 v8, v155, v54
	v_mul_f32_e32 v22, v167, v51
	v_add_f32_e32 v4, v10, v2
	v_add_f32_e32 v1, v2, v7
	v_fma_f32 v18, v162, v48, -v18
	v_sub_f32_e32 v5, v6, v8
	v_mul_f32_e32 v19, v162, v49
	v_add_f32_e32 v4, v4, v7
	v_fma_f32 v10, -0.5, v1, v10
	v_fma_f32 v22, v166, v50, -v22
	v_mul_f32_e32 v23, v166, v51
	v_fmac_f32_e32 v19, v163, v48
	v_mul_f32_e32 v116, v209, v41
	v_fmamk_f32 v1, v5, 0x3f5db3d7, v10
	v_fmac_f32_e32 v10, 0xbf5db3d7, v5
	v_add_f32_e32 v5, v6, v8
	v_add_f32_e32 v6, v11, v6
	v_fmac_f32_e32 v23, v167, v50
	v_mul_f32_e32 v117, v208, v41
	v_fma_f32 v116, v208, v40, -v116
	v_fmac_f32_e32 v11, -0.5, v5
	v_sub_f32_e32 v5, v2, v7
	v_sub_f32_e32 v7, v19, v23
	v_fmac_f32_e32 v117, v209, v40
	v_mul_f32_e32 v146, v213, v43
	v_mul_f32_e32 v147, v212, v43
	v_fmamk_f32 v2, v5, 0xbf5db3d7, v11
	v_fmac_f32_e32 v11, 0x3f5db3d7, v5
	v_add_f32_e32 v5, v6, v8
	v_add_f32_e32 v8, v158, v18
	v_fma_f32 v146, v212, v42, -v146
	v_fmac_f32_e32 v147, v213, v42
	ds_write_b64 v14, v[10:11] offset:4320
	ds_write_b64 v14, v[4:5]
	ds_write_b64 v14, v[1:2] offset:2160
	v_add_f32_e32 v10, v159, v19
	v_sub_f32_e32 v11, v18, v22
	v_add_f32_e32 v8, v8, v22
	v_mul_f32_e32 v118, v211, v33
	v_mul_f32_e32 v152, v215, v35
	;; [unrolled: 1-line block ×5, first 2 shown]
	v_fma_f32 v118, v210, v32, -v118
	v_fma_f32 v152, v214, v34, -v152
	v_fmac_f32_e32 v119, v211, v32
	v_fmac_f32_e32 v153, v215, v34
	v_fma_f32 v154, v220, v28, -v154
	v_mul_f32_e32 v155, v220, v29
	v_mul_f32_e32 v14, v224, v31
	v_fmac_f32_e32 v155, v221, v28
	v_fmac_f32_e32 v14, v225, v30
	v_mul_f32_e32 v9, v161, v239
	v_mul_f32_e32 v20, v165, v241
	;; [unrolled: 1-line block ×4, first 2 shown]
	v_mov_b32_e32 v241, v254
	v_fma_f32 v9, v160, v238, -v9
	v_fma_f32 v20, v164, v240, -v20
	v_fmac_f32_e32 v17, v161, v238
	v_fmac_f32_e32 v21, v165, v240
	v_mul_f32_e32 v160, v223, v25
	v_mul_f32_e32 v161, v222, v25
	v_add_f32_e32 v1, v9, v20
	v_sub_f32_e32 v6, v9, v20
	v_sub_f32_e32 v2, v17, v21
	v_fma_f32 v160, v222, v24, -v160
	v_fmac_f32_e32 v161, v223, v24
	v_fma_f32 v1, -0.5, v1, v156
	v_mov_b32_e32 v240, v253
	v_fmamk_f32 v4, v2, 0x3f5db3d7, v1
	v_fmac_f32_e32 v1, 0xbf5db3d7, v2
	v_add_f32_e32 v2, v17, v21
	v_fma_f32 v2, -0.5, v2, v157
	v_fmamk_f32 v5, v6, 0xbf5db3d7, v2
	v_fmac_f32_e32 v2, 0x3f5db3d7, v6
	v_add_f32_e32 v6, v18, v22
	v_add_f32_e32 v18, v218, v160
	v_lshlrev_b32_sdwa v22, v16, v236 dst_sel:DWORD dst_unused:UNUSED_PAD src0_sel:DWORD src1_sel:WORD_0
	v_fma_f32 v158, -0.5, v6, v158
	v_fmamk_f32 v6, v7, 0x3f5db3d7, v158
	v_fmac_f32_e32 v158, 0xbf5db3d7, v7
	v_add_f32_e32 v7, v19, v23
	v_add_f32_e32 v19, v219, v161
	v_fmac_f32_e32 v159, -0.5, v7
	v_fmamk_f32 v7, v11, 0xbf5db3d7, v159
	v_fmac_f32_e32 v159, 0x3f5db3d7, v11
	ds_write2_b64 v253, v[1:2], v[158:159] offset0:124 offset1:205
	buffer_store_dword v24, off, s[20:23], 0 offset:448 ; 4-byte Folded Spill
	buffer_store_dword v25, off, s[20:23], 0 offset:452 ; 4-byte Folded Spill
	;; [unrolled: 1-line block ×4, first 2 shown]
	v_add_f32_e32 v1, v156, v9
	v_mul_f32_e32 v9, v225, v31
	v_add_f32_e32 v2, v157, v17
	v_mov_b32_e32 v24, v252
	v_add_f32_e32 v1, v1, v20
	v_fma_f32 v11, v224, v30, -v9
	v_add_f32_e32 v2, v2, v21
	v_lshlrev_b32_sdwa v20, v16, v234 dst_sel:DWORD dst_unused:UNUSED_PAD src0_sel:DWORD src1_sel:WORD_0
	v_lshlrev_b32_sdwa v21, v16, v235 dst_sel:DWORD dst_unused:UNUSED_PAD src0_sel:DWORD src1_sel:WORD_0
	v_mul_f32_e32 v9, v227, v27
	v_mul_f32_e32 v17, v226, v27
	v_mov_b32_e32 v27, v200
	v_fma_f32 v15, v226, v26, -v9
	v_add_f32_e32 v9, v10, v23
	ds_write2_b64 v254, v[1:2], v[8:9] offset0:96 offset1:177
	ds_write2_b64 v243, v[4:5], v[6:7] offset0:110 offset1:191
	v_mad_u16 v4, 0x32a, v232, v233
	v_add_f32_e32 v1, v204, v116
	v_add_f32_e32 v2, v205, v117
	v_sub_f32_e32 v6, v117, v147
	v_sub_f32_e32 v7, v116, v146
	v_lshlrev_b32_sdwa v8, v16, v4 dst_sel:DWORD dst_unused:UNUSED_PAD src0_sel:DWORD src1_sel:WORD_0
	v_add_f32_e32 v1, v1, v146
	v_add_f32_e32 v2, v2, v147
	v_add_f32_e32 v9, v207, v119
	v_sub_f32_e32 v10, v154, v11
	buffer_store_dword v8, off, s[20:23], 0 offset:272 ; 4-byte Folded Spill
	v_fmac_f32_e32 v17, v227, v26
	ds_write_b64 v8, v[1:2]
	v_add_f32_e32 v2, v117, v147
	v_add_f32_e32 v1, v116, v146
	v_add_f32_e32 v9, v9, v153
	v_add_f32_e32 v16, v217, v155
	buffer_store_dword v22, off, s[20:23], 0 offset:268 ; 4-byte Folded Spill
	v_fma_f32 v2, -0.5, v2, v205
	v_fma_f32 v1, -0.5, v1, v204
	buffer_store_dword v20, off, s[20:23], 0 offset:324 ; 4-byte Folded Spill
	v_mov_b32_e32 v26, v250
	v_fmamk_f32 v5, v7, 0xbf5db3d7, v2
	v_fmamk_f32 v4, v6, 0x3f5db3d7, v1
	v_fmac_f32_e32 v1, 0xbf5db3d7, v6
	v_fmac_f32_e32 v2, 0x3f5db3d7, v7
	ds_write_b64 v8, v[4:5] offset:2160
	v_sub_f32_e32 v4, v118, v152
	ds_write_b64 v8, v[1:2] offset:4320
	v_add_f32_e32 v1, v118, v152
	v_add_f32_e32 v8, v206, v118
	v_sub_f32_e32 v2, v119, v153
	v_sub_f32_e32 v5, v155, v14
	v_fma_f32 v206, -0.5, v1, v206
	v_add_f32_e32 v8, v8, v152
	v_fmamk_f32 v1, v2, 0x3f5db3d7, v206
	v_fmac_f32_e32 v206, 0xbf5db3d7, v2
	v_add_f32_e32 v2, v119, v153
	v_fmac_f32_e32 v207, -0.5, v2
	v_fmamk_f32 v2, v4, 0xbf5db3d7, v207
	v_fmac_f32_e32 v207, 0x3f5db3d7, v4
	v_add_f32_e32 v4, v154, v11
	ds_write_b64 v20, v[206:207] offset:17280
	v_fma_f32 v4, -0.5, v4, v216
	v_fmamk_f32 v6, v5, 0x3f5db3d7, v4
	v_fmac_f32_e32 v4, 0xbf5db3d7, v5
	v_add_f32_e32 v5, v155, v14
	v_fma_f32 v5, -0.5, v5, v217
	v_fmamk_f32 v7, v10, 0xbf5db3d7, v5
	v_fmac_f32_e32 v5, 0x3f5db3d7, v10
	v_sub_f32_e32 v10, v160, v15
	ds_write_b64 v21, v[4:5] offset:17280
	v_add_f32_e32 v4, v160, v15
	v_sub_f32_e32 v5, v161, v17
	v_fma_f32 v218, -0.5, v4, v218
	v_fmamk_f32 v4, v5, 0x3f5db3d7, v218
	v_fmac_f32_e32 v218, 0xbf5db3d7, v5
	v_add_f32_e32 v5, v161, v17
	v_fmac_f32_e32 v219, -0.5, v5
	v_fmamk_f32 v5, v10, 0xbf5db3d7, v219
	v_fmac_f32_e32 v219, 0x3f5db3d7, v10
	v_add_f32_e32 v10, v216, v154
	ds_write_b64 v22, v[218:219] offset:17280
	ds_write_b64 v20, v[8:9] offset:12960
	;; [unrolled: 1-line block ×3, first 2 shown]
	v_add_co_u32 v1, vcc_lo, 0x1800, v3
	v_add_f32_e32 v10, v10, v11
	v_add_f32_e32 v11, v16, v14
	v_add_co_ci_u32_e32 v2, vcc_lo, 0, v12, vcc_lo
	v_add_f32_e32 v14, v18, v15
	v_add_f32_e32 v15, v19, v17
	v_add_co_u32 v3, vcc_lo, 0x1800, v0
	buffer_store_dword v21, off, s[20:23], 0 offset:300 ; 4-byte Folded Spill
	ds_write_b64 v21, v[10:11] offset:12960
	ds_write_b64 v21, v[6:7] offset:15120
	ds_write_b64 v22, v[14:15] offset:12960
	ds_write_b64 v22, v[4:5] offset:15120
	v_add_co_ci_u32_e32 v4, vcc_lo, 0, v13, vcc_lo
	s_waitcnt lgkmcnt(0)
	s_waitcnt_vscnt null, 0x0
	s_barrier
	buffer_gl0_inv
	global_load_dwordx4 v[12:15], v[1:2], off offset:256
	s_waitcnt vmcnt(0)
	buffer_store_dword v12, off, s[20:23], 0 offset:308 ; 4-byte Folded Spill
	buffer_store_dword v13, off, s[20:23], 0 offset:312 ; 4-byte Folded Spill
	;; [unrolled: 1-line block ×4, first 2 shown]
	global_load_dwordx4 v[8:11], v[3:4], off offset:256
	s_waitcnt vmcnt(0)
	buffer_store_dword v8, off, s[20:23], 0 offset:276 ; 4-byte Folded Spill
	buffer_store_dword v9, off, s[20:23], 0 offset:280 ; 4-byte Folded Spill
	;; [unrolled: 1-line block ×4, first 2 shown]
	ds_read2_b64 v[0:3], v254 offset0:42 offset1:123
	s_waitcnt lgkmcnt(0)
	v_mul_f32_e32 v4, v1, v13
	v_mul_f32_e32 v7, v0, v13
	v_fma_f32 v6, v0, v12, -v4
	v_fmac_f32_e32 v7, v1, v12
	v_mul_f32_e32 v0, v3, v9
	v_mul_f32_e32 v116, v2, v9
	v_fma_f32 v104, v2, v8, -v0
	v_fmac_f32_e32 v116, v3, v8
	ds_read2_b64 v[0:3], v242 offset0:84 offset1:165
	s_waitcnt lgkmcnt(0)
	v_mul_f32_e32 v4, v1, v15
	v_mul_f32_e32 v118, v2, v11
	v_fma_f32 v8, v0, v14, -v4
	v_mul_f32_e32 v0, v0, v15
	v_fmac_f32_e32 v118, v3, v10
	v_sub_f32_e32 v146, v6, v8
	v_fmac_f32_e32 v0, v1, v14
	v_mul_f32_e32 v1, v3, v11
	v_sub_f32_e32 v119, v7, v0
	v_fma_f32 v117, v2, v10, -v1
	ds_read2_b64 v[2:5], v246 offset1:81
	s_waitcnt lgkmcnt(0)
	v_add_f32_e32 v1, v2, v6
	v_add_f32_e32 v9, v3, v7
	;; [unrolled: 1-line block ×6, first 2 shown]
	v_fma_f32 v21, -0.5, v0, v3
	v_fma_f32 v20, -0.5, v1, v2
	ds_read2_b64 v[6:9], v246 offset0:162 offset1:243
	ds_read2_b64 v[10:13], v249 offset0:76 offset1:157
	;; [unrolled: 1-line block ×12, first 2 shown]
	v_fmamk_f32 v23, v146, 0xbf5db3d7, v21
	v_fmamk_f32 v22, v119, 0x3f5db3d7, v20
	v_fmac_f32_e32 v20, 0xbf5db3d7, v119
	v_fmac_f32_e32 v21, 0x3f5db3d7, v146
	ds_write_b64 v246, v[22:23] offset:6480
	v_sub_f32_e32 v22, v104, v117
	ds_write_b64 v246, v[20:21] offset:12960
	v_add_f32_e32 v20, v4, v104
	v_add_f32_e32 v21, v5, v116
	;; [unrolled: 1-line block ×4, first 2 shown]
	ds_write2_b64 v246, v[18:19], v[20:21] offset1:81
	v_add_f32_e32 v18, v104, v117
	v_sub_f32_e32 v21, v116, v118
	v_fma_f32 v4, -0.5, v18, v4
	v_add_f32_e32 v18, v116, v118
	v_fmamk_f32 v20, v21, 0x3f5db3d7, v4
	v_fmac_f32_e32 v5, -0.5, v18
	v_fmac_f32_e32 v4, 0xbf5db3d7, v21
	v_add_co_u32 v18, vcc_lo, 0x1800, v106
	v_add_co_ci_u32_e32 v19, vcc_lo, 0, v107, vcc_lo
	v_fmamk_f32 v21, v22, 0xbf5db3d7, v5
	v_fmac_f32_e32 v5, 0x3f5db3d7, v22
	v_lshlrev_b32_e32 v22, 4, v105
	v_add_co_u32 v22, s6, s10, v22
	v_add_co_ci_u32_e64 v23, null, s11, 0, s6
	v_add_co_u32 v22, vcc_lo, 0x1800, v22
	v_add_co_ci_u32_e32 v23, vcc_lo, 0, v23, vcc_lo
	s_clause 0x1
	global_load_dwordx4 v[116:119], v[18:19], off offset:256
	global_load_dwordx4 v[104:107], v[22:23], off offset:256
	s_waitcnt vmcnt(1) lgkmcnt(13)
	v_mul_f32_e32 v18, v11, v117
	v_mul_f32_e32 v19, v10, v117
	s_waitcnt lgkmcnt(12)
	v_mul_f32_e32 v23, v14, v119
	v_fma_f32 v18, v10, v116, -v18
	v_mul_f32_e32 v10, v15, v119
	v_fmac_f32_e32 v19, v11, v116
	v_fmac_f32_e32 v23, v15, v118
	v_fma_f32 v22, v14, v118, -v10
	v_sub_f32_e32 v11, v19, v23
	v_add_f32_e32 v10, v18, v22
	v_sub_f32_e32 v146, v18, v22
	v_fma_f32 v10, -0.5, v10, v6
	v_fmamk_f32 v14, v11, 0x3f5db3d7, v10
	v_fmac_f32_e32 v10, 0xbf5db3d7, v11
	v_add_f32_e32 v11, v19, v23
	v_fma_f32 v11, -0.5, v11, v7
	v_fmamk_f32 v15, v146, 0xbf5db3d7, v11
	v_fmac_f32_e32 v11, 0x3f5db3d7, v146
	ds_write2_b64 v254, v[20:21], v[14:15] offset0:123 offset1:204
	ds_write2_b64 v242, v[4:5], v[10:11] offset0:165 offset1:246
	s_waitcnt vmcnt(0)
	v_mul_f32_e32 v4, v13, v105
	v_mul_f32_e32 v11, v12, v105
	v_add_f32_e32 v5, v7, v19
	v_fma_f32 v10, v12, v104, -v4
	v_fmac_f32_e32 v11, v13, v104
	v_mul_f32_e32 v4, v17, v107
	v_mul_f32_e32 v13, v16, v107
	v_add_f32_e32 v5, v5, v23
	v_add_f32_e32 v7, v9, v11
	v_fma_f32 v12, v16, v106, -v4
	v_fmac_f32_e32 v13, v17, v106
	v_add_f32_e32 v4, v6, v18
	v_add_f32_e32 v6, v8, v10
	;; [unrolled: 1-line block ×5, first 2 shown]
	ds_write2_b64 v246, v[4:5], v[6:7] offset0:162 offset1:243
	v_add_f32_e32 v4, v10, v12
	v_sub_f32_e32 v7, v11, v13
	v_sub_f32_e32 v10, v10, v12
	v_fma_f32 v8, -0.5, v4, v8
	v_add_f32_e32 v4, v11, v13
	v_fmamk_f32 v6, v7, 0x3f5db3d7, v8
	v_fmac_f32_e32 v9, -0.5, v4
	v_lshlrev_b32_e32 v4, 4, v145
	v_fmac_f32_e32 v8, 0xbf5db3d7, v7
	v_fmamk_f32 v7, v10, 0xbf5db3d7, v9
	v_fmac_f32_e32 v9, 0x3f5db3d7, v10
	v_lshlrev_b32_e32 v10, 4, v144
	v_add_co_u32 v4, s6, s10, v4
	v_add_co_ci_u32_e64 v5, null, s11, 0, s6
	v_add_co_u32 v10, s6, s10, v10
	v_add_co_u32 v4, vcc_lo, 0x1800, v4
	v_add_co_ci_u32_e64 v11, null, s11, 0, s6
	v_add_co_ci_u32_e32 v5, vcc_lo, 0, v5, vcc_lo
	v_add_co_u32 v10, vcc_lo, 0x1800, v10
	v_add_co_ci_u32_e32 v11, vcc_lo, 0, v11, vcc_lo
	s_clause 0x1
	global_load_dwordx4 v[160:163], v[4:5], off offset:256
	global_load_dwordx4 v[144:147], v[10:11], off offset:256
	s_waitcnt vmcnt(1) lgkmcnt(13)
	v_mul_f32_e32 v4, v153, v161
	v_mul_f32_e32 v13, v152, v161
	s_waitcnt lgkmcnt(12)
	v_mul_f32_e32 v15, v156, v163
	s_waitcnt vmcnt(0)
	v_mul_f32_e32 v17, v154, v145
	v_mul_f32_e32 v19, v158, v147
	v_fma_f32 v12, v152, v160, -v4
	v_mul_f32_e32 v4, v157, v163
	v_fmac_f32_e32 v13, v153, v160
	v_fmac_f32_e32 v15, v157, v162
	;; [unrolled: 1-line block ×4, first 2 shown]
	v_fma_f32 v14, v156, v162, -v4
	v_sub_f32_e32 v5, v13, v15
	v_add_f32_e32 v4, v12, v14
	v_sub_f32_e32 v16, v12, v14
	v_fma_f32 v4, -0.5, v4, v204
	v_fmamk_f32 v10, v5, 0x3f5db3d7, v4
	v_fmac_f32_e32 v4, 0xbf5db3d7, v5
	v_add_f32_e32 v5, v13, v15
	v_fma_f32 v5, -0.5, v5, v205
	v_fmamk_f32 v11, v16, 0xbf5db3d7, v5
	v_fmac_f32_e32 v5, 0x3f5db3d7, v16
	ds_write2_b64 v245, v[8:9], v[4:5] offset0:71 offset1:152
	v_mul_f32_e32 v4, v155, v145
	v_lshlrev_b32_e32 v8, 4, v149
	v_fma_f32 v16, v154, v144, -v4
	v_mul_f32_e32 v4, v159, v147
	v_fma_f32 v18, v158, v146, -v4
	v_lshlrev_b32_e32 v4, 4, v150
	v_add_co_u32 v4, s6, s10, v4
	v_add_co_ci_u32_e64 v5, null, s11, 0, s6
	v_add_co_u32 v8, s6, s10, v8
	v_add_co_u32 v4, vcc_lo, 0x1800, v4
	v_add_co_ci_u32_e64 v9, null, s11, 0, s6
	v_add_co_ci_u32_e32 v5, vcc_lo, 0, v5, vcc_lo
	v_add_co_u32 v8, vcc_lo, 0x1800, v8
	v_add_co_ci_u32_e32 v9, vcc_lo, 0, v9, vcc_lo
	s_clause 0x1
	global_load_dwordx4 v[164:167], v[4:5], off offset:256
	global_load_dwordx4 v[152:155], v[8:9], off offset:256
	v_lshlrev_b32_e32 v8, 4, v148
	s_waitcnt vmcnt(1) lgkmcnt(11)
	v_mul_f32_e32 v4, v213, v165
	v_mul_f32_e32 v21, v212, v165
	s_waitcnt vmcnt(0)
	v_mul_f32_e32 v23, v214, v153
	v_fma_f32 v20, v212, v164, -v4
	v_mul_f32_e32 v4, v215, v153
	v_fmac_f32_e32 v21, v213, v164
	s_waitcnt lgkmcnt(10)
	v_mul_f32_e32 v213, v216, v167
	v_fmac_f32_e32 v23, v215, v152
	v_mul_f32_e32 v215, v218, v155
	v_fma_f32 v22, v214, v152, -v4
	v_mul_f32_e32 v4, v217, v167
	v_fmac_f32_e32 v213, v217, v166
	v_fmac_f32_e32 v215, v219, v154
	v_fma_f32 v212, v216, v166, -v4
	v_mul_f32_e32 v4, v219, v155
	v_fma_f32 v214, v218, v154, -v4
	v_lshlrev_b32_e32 v4, 4, v151
	v_add_co_u32 v4, s6, s10, v4
	v_add_co_ci_u32_e64 v5, null, s11, 0, s6
	v_add_co_u32 v8, s6, s10, v8
	v_add_co_u32 v4, vcc_lo, 0x1800, v4
	v_add_co_ci_u32_e64 v9, null, s11, 0, s6
	v_add_co_ci_u32_e32 v5, vcc_lo, 0, v5, vcc_lo
	v_add_co_u32 v8, vcc_lo, 0x1800, v8
	v_add_co_ci_u32_e32 v9, vcc_lo, 0, v9, vcc_lo
	s_clause 0x1
	global_load_dwordx4 v[156:159], v[4:5], off offset:256
	global_load_dwordx4 v[148:151], v[8:9], off offset:256
	ds_write2_b64 v243, v[6:7], v[10:11] offset0:29 offset1:110
	v_add_f32_e32 v10, v206, v16
	v_sub_f32_e32 v5, v17, v19
	v_add_f32_e32 v11, v207, v17
	v_sub_f32_e32 v6, v16, v18
	v_sub_f32_e32 v7, v21, v213
	v_add_f32_e32 v10, v10, v18
	buffer_store_dword v251, off, s[20:23], 0 offset:520 ; 4-byte Folded Spill
	v_add_f32_e32 v11, v11, v19
	s_waitcnt vmcnt(1) lgkmcnt(9)
	v_mul_f32_e32 v4, v221, v157
	v_mul_f32_e32 v217, v220, v157
	s_waitcnt vmcnt(0)
	v_mul_f32_e32 v219, v222, v149
	v_fma_f32 v216, v220, v156, -v4
	v_mul_f32_e32 v4, v223, v149
	v_fmac_f32_e32 v217, v221, v156
	v_fmac_f32_e32 v219, v223, v148
	v_fma_f32 v218, v222, v148, -v4
	v_add_f32_e32 v4, v16, v18
	v_sub_f32_e32 v16, v20, v212
	v_fma_f32 v206, -0.5, v4, v206
	v_fmamk_f32 v4, v5, 0x3f5db3d7, v206
	v_fmac_f32_e32 v206, 0xbf5db3d7, v5
	v_add_f32_e32 v5, v17, v19
	s_waitcnt lgkmcnt(8)
	v_mul_f32_e32 v17, v226, v151
	v_fmac_f32_e32 v207, -0.5, v5
	v_fmac_f32_e32 v17, v227, v150
	v_fmamk_f32 v5, v6, 0xbf5db3d7, v207
	v_fmac_f32_e32 v207, 0x3f5db3d7, v6
	v_add_f32_e32 v6, v20, v212
	v_fma_f32 v6, -0.5, v6, v208
	v_fmamk_f32 v8, v7, 0x3f5db3d7, v6
	v_fmac_f32_e32 v6, 0xbf5db3d7, v7
	v_add_f32_e32 v7, v21, v213
	v_fma_f32 v7, -0.5, v7, v209
	v_fmamk_f32 v9, v16, 0xbf5db3d7, v7
	v_fmac_f32_e32 v7, 0x3f5db3d7, v16
	v_mul_f32_e32 v16, v227, v151
	ds_write2_b64 v251, v[206:207], v[6:7] offset0:105 offset1:186
	v_add_f32_e32 v6, v204, v12
	v_add_f32_e32 v7, v205, v13
	v_mul_f32_e32 v12, v225, v159
	v_mul_f32_e32 v13, v224, v159
	v_fma_f32 v16, v226, v150, -v16
	v_add_f32_e32 v6, v6, v14
	v_add_f32_e32 v7, v7, v15
	v_fma_f32 v12, v224, v158, -v12
	v_fmac_f32_e32 v13, v225, v158
	ds_write2_b64 v255, v[6:7], v[10:11] offset0:68 offset1:149
	v_add_nc_u32_e32 v6, 0x2400, v246
	v_add_f32_e32 v7, v211, v23
	v_sub_f32_e32 v10, v217, v13
	v_sub_f32_e32 v11, v216, v12
	ds_write2_b64 v6, v[4:5], v[8:9] offset0:63 offset1:144
	v_mov_b32_e32 v25, v6
	v_add_f32_e32 v4, v208, v20
	v_add_f32_e32 v5, v209, v21
	v_add_f32_e32 v6, v210, v22
	v_add_f32_e32 v7, v7, v215
	buffer_store_dword v25, off, s[20:23], 0 offset:516 ; 4-byte Folded Spill
	v_add_f32_e32 v4, v4, v212
	v_add_f32_e32 v5, v5, v213
	;; [unrolled: 1-line block ×3, first 2 shown]
	ds_write2_b64 v250, v[4:5], v[6:7] offset0:102 offset1:183
	v_add_f32_e32 v4, v22, v214
	v_sub_f32_e32 v5, v23, v215
	v_sub_f32_e32 v6, v22, v214
	v_add_f32_e32 v7, v217, v13
	v_fma_f32 v210, -0.5, v4, v210
	v_add_f32_e32 v4, v23, v215
	v_fma_f32 v7, -0.5, v7, v1
	v_add_f32_e32 v1, v1, v217
	v_fmac_f32_e32 v211, -0.5, v4
	v_fmamk_f32 v4, v5, 0x3f5db3d7, v210
	v_fmac_f32_e32 v210, 0xbf5db3d7, v5
	v_fmamk_f32 v9, v11, 0xbf5db3d7, v7
	v_fmac_f32_e32 v7, 0x3f5db3d7, v11
	;; [unrolled: 2-line block ×3, first 2 shown]
	v_add_f32_e32 v6, v216, v12
	v_add_f32_e32 v1, v1, v13
	ds_write_b64 v246, v[210:211] offset:17496
	v_fma_f32 v6, -0.5, v6, v0
	v_add_f32_e32 v0, v0, v216
	v_fmamk_f32 v8, v10, 0x3f5db3d7, v6
	v_fmac_f32_e32 v6, 0xbf5db3d7, v10
	v_sub_f32_e32 v10, v218, v16
	v_add_f32_e32 v0, v0, v12
	ds_write2_b64 v253, v[4:5], v[8:9] offset0:97 offset1:178
	v_add_f32_e32 v4, v218, v16
	v_add_f32_e32 v8, v2, v218
	v_sub_f32_e32 v5, v219, v17
	v_add_f32_e32 v9, v3, v219
	v_fma_f32 v2, -0.5, v4, v2
	v_fmamk_f32 v4, v5, 0x3f5db3d7, v2
	v_fmac_f32_e32 v2, 0xbf5db3d7, v5
	v_add_f32_e32 v5, v219, v17
	v_fmac_f32_e32 v3, -0.5, v5
	v_fmamk_f32 v5, v10, 0xbf5db3d7, v3
	v_fmac_f32_e32 v3, 0x3f5db3d7, v10
	ds_write2_b64 v200, v[6:7], v[2:3] offset0:92 offset1:173
	v_add_f32_e32 v2, v8, v16
	v_add_f32_e32 v3, v9, v17
	ds_write2_b64 v244, v[0:1], v[2:3] offset0:136 offset1:217
	ds_write_b64 v246, v[4:5] offset:12312
	s_waitcnt lgkmcnt(0)
	s_waitcnt_vscnt null, 0x0
	s_barrier
	buffer_gl0_inv
	s_clause 0x1
	buffer_load_dword v0, off, s[20:23], 0 offset:524
	buffer_load_dword v1, off, s[20:23], 0 offset:528
	v_add_co_u32 v6, vcc_lo, 0x4bf0, v202
	v_add_co_ci_u32_e32 v7, vcc_lo, 0, v203, vcc_lo
	s_waitcnt vmcnt(0)
	s_clause 0x2
	global_load_dwordx2 v[4:5], v[0:1], off offset:1008
	global_load_dwordx2 v[8:9], v[6:7], off offset:648
	;; [unrolled: 1-line block ×3, first 2 shown]
	ds_read2_b64 v[0:3], v246 offset1:81
	s_waitcnt vmcnt(2) lgkmcnt(0)
	v_mul_f32_e32 v12, v1, v5
	v_mul_f32_e32 v13, v0, v5
	s_waitcnt vmcnt(1)
	v_mul_f32_e32 v5, v2, v9
	v_fma_f32 v12, v0, v4, -v12
	v_mul_f32_e32 v0, v3, v9
	v_fmac_f32_e32 v13, v1, v4
	v_fmac_f32_e32 v5, v3, v8
	v_fma_f32 v4, v2, v8, -v0
	v_add_co_u32 v0, vcc_lo, 0x5800, v202
	v_add_co_ci_u32_e32 v1, vcc_lo, 0, v203, vcc_lo
	v_add_co_u32 v8, vcc_lo, 0x6000, v202
	v_add_co_ci_u32_e32 v9, vcc_lo, 0, v203, vcc_lo
	ds_write_b64 v246, v[12:13]
	s_clause 0x3
	global_load_dwordx2 v[12:13], v[0:1], off offset:800
	global_load_dwordx2 v[14:15], v[0:1], off offset:1448
	;; [unrolled: 1-line block ×4, first 2 shown]
	ds_read2_b64 v[0:3], v250 offset0:102 offset1:183
	buffer_store_dword v26, off, s[20:23], 0 offset:532 ; 4-byte Folded Spill
	v_mov_b32_e32 v250, v247
	s_waitcnt vmcnt(3) lgkmcnt(0)
	v_mul_f32_e32 v20, v1, v13
	v_mul_f32_e32 v21, v0, v13
	s_waitcnt vmcnt(2)
	v_mul_f32_e32 v13, v2, v15
	v_fma_f32 v20, v0, v12, -v20
	v_mul_f32_e32 v0, v3, v15
	v_fmac_f32_e32 v21, v1, v12
	v_fmac_f32_e32 v13, v3, v14
	v_fma_f32 v12, v2, v14, -v0
	v_add_co_u32 v14, vcc_lo, 0x6800, v202
	v_add_co_ci_u32_e32 v15, vcc_lo, 0, v203, vcc_lo
	s_clause 0x1
	global_load_dwordx2 v[22:23], v[14:15], off offset:592
	global_load_dwordx2 v[200:201], v[8:9], off offset:1992
	ds_read2_b64 v[0:3], v249 offset0:76 offset1:157
	buffer_store_dword v249, off, s[20:23], 0 offset:544 ; 4-byte Folded Spill
	s_waitcnt vmcnt(1) lgkmcnt(0)
	v_mul_f32_e32 v204, v1, v23
	v_mul_f32_e32 v205, v0, v23
	v_fma_f32 v204, v0, v22, -v204
	v_fmac_f32_e32 v205, v1, v22
	v_add_co_u32 v22, vcc_lo, 0x7000, v202
	v_add_co_ci_u32_e32 v23, vcc_lo, 0, v203, vcc_lo
	s_clause 0x2
	global_load_dwordx2 v[0:1], v[14:15], off offset:1240
	global_load_dwordx2 v[206:207], v[22:23], off offset:1136
	;; [unrolled: 1-line block ×3, first 2 shown]
	s_waitcnt vmcnt(2)
	v_mul_f32_e32 v208, v3, v1
	v_mul_f32_e32 v209, v2, v1
	v_fma_f32 v208, v2, v0, -v208
	v_fmac_f32_e32 v209, v3, v0
	v_add_co_u32 v0, vcc_lo, 0x7800, v202
	v_add_co_ci_u32_e32 v1, vcc_lo, 0, v203, vcc_lo
	s_clause 0x3
	global_load_dwordx2 v[210:211], v[0:1], off offset:384
	global_load_dwordx2 v[212:213], v[0:1], off offset:1032
	;; [unrolled: 1-line block ×4, first 2 shown]
	ds_read2_b64 v[0:3], v247 offset0:50 offset1:131
	buffer_store_dword v250, off, s[20:23], 0 offset:540 ; 4-byte Folded Spill
	v_mov_b32_e32 v247, v245
	s_waitcnt vmcnt(3) lgkmcnt(0)
	v_mul_f32_e32 v218, v1, v211
	v_mul_f32_e32 v219, v0, v211
	s_waitcnt vmcnt(2)
	v_mul_f32_e32 v211, v2, v213
	v_fma_f32 v218, v0, v210, -v218
	v_mul_f32_e32 v0, v3, v213
	v_fmac_f32_e32 v219, v1, v210
	v_fmac_f32_e32 v211, v3, v212
	v_fma_f32 v210, v2, v212, -v0
	v_add_co_u32 v212, vcc_lo, 0x8800, v202
	v_add_co_ci_u32_e32 v213, vcc_lo, 0, v203, vcc_lo
	v_add_co_u32 v220, vcc_lo, 0x8000, v202
	v_add_co_ci_u32_e32 v221, vcc_lo, 0, v203, vcc_lo
	s_clause 0x1
	global_load_dwordx2 v[222:223], v[212:213], off offset:176
	global_load_dwordx2 v[224:225], v[220:221], off offset:1576
	ds_read2_b64 v[0:3], v245 offset0:152 offset1:233
	v_mov_b32_e32 v245, v255
	s_waitcnt vmcnt(1) lgkmcnt(0)
	v_mul_f32_e32 v226, v1, v223
	v_mul_f32_e32 v227, v0, v223
	v_fma_f32 v226, v0, v222, -v226
	v_fmac_f32_e32 v227, v1, v222
	v_add_co_u32 v222, vcc_lo, 0x9000, v202
	v_add_co_ci_u32_e32 v223, vcc_lo, 0, v203, vcc_lo
	s_clause 0x3
	global_load_dwordx2 v[0:1], v[212:213], off offset:824
	global_load_dwordx2 v[228:229], v[222:223], off offset:720
	;; [unrolled: 1-line block ×4, first 2 shown]
	s_waitcnt vmcnt(3)
	v_mul_f32_e32 v230, v3, v1
	v_mul_f32_e32 v231, v2, v1
	v_fma_f32 v230, v2, v0, -v230
	v_fmac_f32_e32 v231, v3, v0
	ds_read2_b64 v[0:3], v246 offset0:162 offset1:243
	s_waitcnt vmcnt(0) lgkmcnt(0)
	v_mul_f32_e32 v232, v3, v7
	v_mul_f32_e32 v233, v2, v7
	;; [unrolled: 1-line block ×3, first 2 shown]
	v_fma_f32 v232, v2, v6, -v232
	v_mul_f32_e32 v2, v1, v11
	v_fmac_f32_e32 v233, v3, v6
	v_fmac_f32_e32 v7, v1, v10
	v_fma_f32 v6, v0, v10, -v2
	v_add_co_u32 v0, vcc_lo, 0x5000, v202
	v_add_co_ci_u32_e32 v1, vcc_lo, 0, v203, vcc_lo
	s_clause 0x1
	global_load_dwordx2 v[10:11], v[0:1], off offset:1552
	global_load_dwordx2 v[202:203], v[222:223], off offset:1368
	ds_read2_b64 v[0:3], v255 offset0:68 offset1:149
	s_waitcnt vmcnt(1) lgkmcnt(0)
	v_mul_f32_e32 v234, v1, v11
	v_mul_f32_e32 v235, v0, v11
	;; [unrolled: 1-line block ×3, first 2 shown]
	v_fma_f32 v234, v0, v10, -v234
	v_mul_f32_e32 v0, v3, v19
	v_fmac_f32_e32 v235, v1, v10
	v_fmac_f32_e32 v11, v3, v18
	v_fma_f32 v10, v2, v18, -v0
	s_clause 0x2
	global_load_dwordx2 v[18:19], v[8:9], off offset:696
	global_load_dwordx2 v[8:9], v[8:9], off offset:1344
	;; [unrolled: 1-line block ×3, first 2 shown]
	ds_read2_b64 v[0:3], v244 offset0:136 offset1:217
	s_waitcnt vmcnt(2) lgkmcnt(0)
	v_mul_f32_e32 v236, v3, v19
	v_mul_f32_e32 v237, v2, v19
	v_mul_f32_e32 v19, v0, v17
	v_fma_f32 v236, v2, v18, -v236
	v_mul_f32_e32 v2, v1, v17
	v_fmac_f32_e32 v237, v3, v18
	v_fmac_f32_e32 v19, v1, v16
	v_fma_f32 v18, v0, v16, -v2
	ds_read2_b64 v[0:3], v254 offset0:42 offset1:123
	s_waitcnt vmcnt(1) lgkmcnt(0)
	v_mul_f32_e32 v16, v1, v9
	v_mul_f32_e32 v17, v0, v9
	v_mul_f32_e32 v9, v2, v201
	v_fma_f32 v16, v0, v8, -v16
	v_mul_f32_e32 v0, v3, v201
	v_fmac_f32_e32 v17, v1, v8
	v_fmac_f32_e32 v9, v3, v200
	v_fma_f32 v8, v2, v200, -v0
	;; [unrolled: 10-line block ×3, first 2 shown]
	ds_read2_b64 v[0:3], v253 offset0:16 offset1:97
	s_waitcnt lgkmcnt(0)
	v_mul_f32_e32 v14, v1, v207
	v_mul_f32_e32 v15, v0, v207
	v_mul_f32_e32 v207, v2, v217
	v_fma_f32 v14, v0, v206, -v14
	v_mul_f32_e32 v0, v3, v217
	v_fmac_f32_e32 v15, v1, v206
	v_fmac_f32_e32 v207, v3, v216
	v_fma_f32 v206, v2, v216, -v0
	s_clause 0x2
	global_load_dwordx2 v[216:217], v[220:221], off offset:280
	global_load_dwordx2 v[220:221], v[220:221], off offset:928
	;; [unrolled: 1-line block ×3, first 2 shown]
	ds_read2_b64 v[0:3], v242 offset0:84 offset1:165
	buffer_store_dword v24, off, s[20:23], 0 offset:580 ; 4-byte Folded Spill
	buffer_store_dword v27, off, s[20:23], 0 offset:572 ; 4-byte Folded Spill
	s_waitcnt vmcnt(2) lgkmcnt(0)
	v_mul_f32_e32 v238, v3, v217
	v_mul_f32_e32 v239, v2, v217
	v_mul_f32_e32 v217, v0, v215
	v_fma_f32 v238, v2, v216, -v238
	v_mul_f32_e32 v2, v1, v215
	v_fmac_f32_e32 v239, v3, v216
	v_fmac_f32_e32 v217, v1, v214
	v_fma_f32 v216, v0, v214, -v2
	ds_read2_b64 v[0:3], v252 offset0:118 offset1:199
	s_waitcnt vmcnt(1) lgkmcnt(0)
	v_mul_f32_e32 v214, v1, v221
	v_mul_f32_e32 v215, v0, v221
	v_mul_f32_e32 v221, v2, v225
	v_fma_f32 v214, v0, v220, -v214
	v_mul_f32_e32 v0, v3, v225
	v_fmac_f32_e32 v215, v1, v220
	v_fmac_f32_e32 v221, v3, v224
	v_fma_f32 v220, v2, v224, -v0
	ds_read2_b64 v[0:3], v248 offset0:58 offset1:139
	;; [unrolled: 10-line block ×3, first 2 shown]
	s_waitcnt lgkmcnt(0)
	v_mul_f32_e32 v212, v1, v229
	v_mul_f32_e32 v213, v0, v229
	v_fma_f32 v212, v0, v228, -v212
	v_mul_f32_e32 v0, v3, v203
	v_fmac_f32_e32 v213, v1, v228
	v_mul_f32_e32 v1, v2, v203
	v_fma_f32 v0, v2, v202, -v0
	v_add_nc_u32_e32 v2, 0x400, v246
	v_fmac_f32_e32 v1, v3, v202
	ds_write2_b64 v2, v[232:233], v[234:235] offset0:115 offset1:196
	v_add_nc_u32_e32 v2, 0x1400, v246
	ds_write2_b64 v2, v[236:237], v[16:17] offset0:89 offset1:170
	ds_write2_b64 v25, v[200:201], v[14:15] offset0:63 offset1:144
	;; [unrolled: 1-line block ×4, first 2 shown]
	v_mov_b32_e32 v2, v247
	buffer_store_dword v248, off, s[20:23], 0 offset:556 ; 4-byte Folded Spill
	ds_write2_b64 v246, v[4:5], v[6:7] offset0:81 offset1:162
	ds_write2_b64 v255, v[10:11], v[20:21] offset0:149 offset1:230
	buffer_store_dword v245, off, s[20:23], 0 offset:568 ; 4-byte Folded Spill
	buffer_store_dword v244, off, s[20:23], 0 offset:536 ; 4-byte Folded Spill
	ds_write2_b64 v244, v[12:13], v[18:19] offset0:55 offset1:136
	ds_write2_b64 v254, v[8:9], v[204:205] offset0:123 offset1:204
	buffer_store_dword v241, off, s[20:23], 0 offset:584 ; 4-byte Folded Spill
	;; [unrolled: 4-line block ×3, first 2 shown]
	ds_write2_b64 v242, v[210:211], v[216:217] offset0:3 offset1:84
	buffer_store_dword v242, off, s[20:23], 0 offset:564 ; 4-byte Folded Spill
	buffer_store_dword v2, off, s[20:23], 0 offset:548 ; 4-byte Folded Spill
	ds_write2_b64 v247, v[220:221], v[226:227] offset0:71 offset1:152
	ds_write2_b64 v251, v[230:231], v[222:223] offset0:105 offset1:186
	ds_write_b64 v246, v[0:1] offset:18792
	s_waitcnt lgkmcnt(0)
	s_waitcnt_vscnt null, 0x0
	s_barrier
	buffer_gl0_inv
	ds_read2_b64 v[220:223], v26 offset0:102 offset1:183
	ds_read2_b64 v[224:227], v249 offset0:76 offset1:157
	ds_read2_b64 v[236:239], v250 offset0:50 offset1:131
	ds_read2_b64 v[232:235], v247 offset0:152 offset1:233
	s_waitcnt lgkmcnt(2)
	v_sub_f32_e32 v0, v220, v224
	s_waitcnt lgkmcnt(0)
	v_sub_f32_e32 v1, v232, v236
	v_sub_f32_e32 v21, v221, v233
	;; [unrolled: 1-line block ×4, first 2 shown]
	v_add_f32_e32 v19, v0, v1
	v_sub_f32_e32 v0, v221, v225
	v_sub_f32_e32 v1, v233, v237
	buffer_store_dword v19, off, s[20:23], 0 offset:592 ; 4-byte Folded Spill
	v_add_f32_e32 v25, v0, v1
	buffer_store_dword v25, off, s[20:23], 0 offset:596 ; 4-byte Folded Spill
	ds_read2_b64 v[204:207], v244 offset0:136 offset1:217
	ds_read2_b64 v[208:211], v243 offset0:110 offset1:191
	;; [unrolled: 1-line block ×5, first 2 shown]
	buffer_store_dword v246, off, s[20:23], 0 offset:560 ; 4-byte Folded Spill
	s_waitcnt lgkmcnt(3)
	v_sub_f32_e32 v0, v206, v210
	s_waitcnt lgkmcnt(1)
	v_sub_f32_e32 v1, v214, v218
	v_sub_f32_e32 v8, v206, v214
	;; [unrolled: 1-line block ×5, first 2 shown]
	v_add_f32_e32 v2, v0, v1
	v_sub_f32_e32 v0, v207, v211
	v_sub_f32_e32 v1, v215, v219
	buffer_store_dword v2, off, s[20:23], 0 offset:524 ; 4-byte Folded Spill
	v_add_f32_e32 v3, v0, v1
	v_add_f32_e32 v0, v210, v218
	buffer_store_dword v3, off, s[20:23], 0 offset:588 ; 4-byte Folded Spill
	s_waitcnt lgkmcnt(0)
	v_fma_f32 v5, -0.5, v0, v202
	v_add_f32_e32 v0, v211, v219
	v_fmamk_f32 v1, v9, 0xbf737871, v5
	v_fma_f32 v6, -0.5, v0, v203
	v_fmac_f32_e32 v5, 0x3f737871, v9
	v_fmac_f32_e32 v1, 0xbf167918, v12
	v_fmamk_f32 v0, v8, 0x3f737871, v6
	v_fmac_f32_e32 v6, 0xbf737871, v8
	v_fmac_f32_e32 v5, 0x3f167918, v12
	;; [unrolled: 1-line block ×5, first 2 shown]
	v_mul_f32_e32 v11, 0x3f167918, v1
	v_fmac_f32_e32 v0, 0x3e9e377a, v3
	v_mul_f32_e32 v10, 0xbf167918, v0
	v_fmac_f32_e32 v11, 0x3f4f1bbd, v0
	v_fmac_f32_e32 v10, 0x3f4f1bbd, v1
	ds_read2_b64 v[0:3], v246 offset1:81
	s_waitcnt lgkmcnt(0)
	v_add_f32_e32 v4, v0, v220
	v_add_f32_e32 v7, v1, v221
	v_add_f32_e32 v4, v4, v224
	v_add_f32_e32 v13, v7, v225
	v_sub_f32_e32 v7, v225, v237
	v_add_f32_e32 v4, v4, v236
	v_add_f32_e32 v16, v13, v237
	;; [unrolled: 1-line block ×7, first 2 shown]
	buffer_store_dword v26, off, s[20:23], 0 offset:604 ; 4-byte Folded Spill
	v_fma_f32 v4, -0.5, v4, v0
	v_add_f32_e32 v18, v15, v218
	v_add_f32_e32 v17, v13, v211
	;; [unrolled: 1-line block ×3, first 2 shown]
	v_fmamk_f32 v14, v21, 0xbf737871, v4
	v_add_f32_e32 v18, v18, v214
	v_add_f32_e32 v17, v17, v219
	v_fma_f32 v13, -0.5, v13, v1
	v_fmac_f32_e32 v4, 0x3f737871, v21
	v_fmac_f32_e32 v14, 0xbf167918, v7
	buffer_store_dword v18, off, s[20:23], 0 offset:600 ; 4-byte Folded Spill
	v_add_f32_e32 v229, v17, v215
	v_fmamk_f32 v15, v22, 0x3f737871, v13
	v_fmac_f32_e32 v4, 0x3f167918, v7
	v_fmac_f32_e32 v14, 0x3e9e377a, v19
	v_add_f32_e32 v19, v16, v233
	v_add_f32_e32 v16, v26, v18
	v_mov_b32_e32 v26, v229
	v_fmac_f32_e32 v15, 0x3f167918, v23
	v_add_f32_e32 v18, v14, v10
	v_add_f32_e32 v17, v19, v229
	ds_read2_b64 v[228:231], v255 offset0:68 offset1:149
	ds_read2_b64 v[248:251], v254 offset0:42 offset1:123
	;; [unrolled: 1-line block ×5, first 2 shown]
	s_waitcnt lgkmcnt(0)
	s_waitcnt_vscnt null, 0x0
	s_barrier
	buffer_gl0_inv
	buffer_load_dword v24, off, s[20:23], 0 offset:252 ; 4-byte Folded Reload
	v_fmac_f32_e32 v15, 0x3e9e377a, v25
	v_mov_b32_e32 v25, v19
	v_fmac_f32_e32 v13, 0xbf737871, v22
	v_add_f32_e32 v19, v15, v11
	v_fmac_f32_e32 v13, 0xbf167918, v23
	s_waitcnt vmcnt(0)
	ds_write_b128 v24, v[16:19]
	v_sub_f32_e32 v16, v224, v220
	v_sub_f32_e32 v17, v236, v232
	;; [unrolled: 1-line block ×3, first 2 shown]
	v_add_f32_e32 v16, v16, v17
	v_add_f32_e32 v17, v220, v232
	v_fma_f32 v0, -0.5, v17, v0
	v_sub_f32_e32 v17, v237, v233
	v_fmamk_f32 v220, v7, 0x3f737871, v0
	v_fmac_f32_e32 v0, 0xbf737871, v7
	v_fmac_f32_e32 v220, 0xbf167918, v21
	;; [unrolled: 1-line block ×5, first 2 shown]
	v_sub_f32_e32 v16, v225, v221
	v_add_f32_e32 v16, v16, v17
	v_add_f32_e32 v17, v221, v233
	v_fma_f32 v1, -0.5, v17, v1
	v_sub_f32_e32 v17, v218, v214
	v_fmamk_f32 v221, v23, 0xbf737871, v1
	v_fmac_f32_e32 v1, 0x3f737871, v23
	v_fmac_f32_e32 v221, 0x3f167918, v22
	;; [unrolled: 1-line block ×5, first 2 shown]
	v_sub_f32_e32 v16, v210, v206
	v_add_f32_e32 v16, v16, v17
	v_add_f32_e32 v17, v206, v214
	v_fma_f32 v17, -0.5, v17, v202
	v_fmamk_f32 v18, v12, 0x3f737871, v17
	v_fmac_f32_e32 v17, 0xbf737871, v12
	v_fmac_f32_e32 v18, 0xbf167918, v9
	;; [unrolled: 1-line block ×5, first 2 shown]
	v_sub_f32_e32 v16, v211, v207
	v_add_f32_e32 v16, v16, v19
	v_add_f32_e32 v19, v207, v215
	v_fma_f32 v19, -0.5, v19, v203
	v_fmamk_f32 v202, v20, 0xbf737871, v19
	v_fmac_f32_e32 v19, 0x3f737871, v20
	v_fmac_f32_e32 v202, 0x3f167918, v8
	;; [unrolled: 1-line block ×5, first 2 shown]
	v_mul_f32_e32 v203, 0xbf737871, v202
	v_mul_f32_e32 v202, 0x3e9e377a, v202
	;; [unrolled: 1-line block ×4, first 2 shown]
	v_fmac_f32_e32 v203, 0x3e9e377a, v18
	v_fmac_f32_e32 v202, 0x3f737871, v18
	;; [unrolled: 1-line block ×4, first 2 shown]
	v_add_f32_e32 v16, v220, v203
	v_add_f32_e32 v17, v221, v202
	;; [unrolled: 1-line block ×4, first 2 shown]
	v_sub_f32_e32 v8, v221, v202
	v_sub_f32_e32 v202, v248, v240
	ds_write_b128 v24, v[16:19] offset:16
	s_clause 0x2
	buffer_load_dword v16, off, s[20:23], 0 offset:600
	buffer_load_dword v17, off, s[20:23], 0 offset:604
	;; [unrolled: 1-line block ×3, first 2 shown]
	v_sub_f32_e32 v19, v25, v26
	s_waitcnt vmcnt(1)
	v_sub_f32_e32 v18, v17, v16
	s_waitcnt vmcnt(0)
	v_fmac_f32_e32 v6, 0x3e9e377a, v7
	buffer_load_dword v7, off, s[20:23], 0 offset:592 ; 4-byte Folded Reload
	v_mul_f32_e32 v9, 0xbf167918, v6
	v_mul_f32_e32 v12, 0xbf4f1bbd, v6
	v_sub_f32_e32 v6, v15, v11
	v_add_f32_e32 v15, v223, v235
	v_sub_f32_e32 v11, v227, v223
	s_waitcnt vmcnt(0)
	v_fmac_f32_e32 v4, 0x3e9e377a, v7
	buffer_load_dword v7, off, s[20:23], 0 offset:596 ; 4-byte Folded Reload
	s_waitcnt vmcnt(0)
	v_fmac_f32_e32 v13, 0x3e9e377a, v7
	buffer_load_dword v7, off, s[20:23], 0 offset:524 ; 4-byte Folded Reload
	s_waitcnt vmcnt(0)
	v_fmac_f32_e32 v5, 0x3e9e377a, v7
	v_sub_f32_e32 v7, v220, v203
	v_sub_f32_e32 v203, v252, v244
	v_fmac_f32_e32 v9, 0xbf4f1bbd, v5
	v_fmac_f32_e32 v12, 0x3f167918, v5
	v_sub_f32_e32 v5, v14, v10
	v_sub_f32_e32 v14, v222, v234
	;; [unrolled: 1-line block ×3, first 2 shown]
	v_add_f32_e32 v16, v4, v9
	v_add_f32_e32 v17, v13, v12
	ds_write_b128 v24, v[5:8] offset:48
	v_sub_f32_e32 v5, v0, v206
	v_sub_f32_e32 v7, v4, v9
	;; [unrolled: 1-line block ×4, first 2 shown]
	ds_write_b128 v24, v[16:19] offset:32
	v_sub_f32_e32 v16, v234, v238
	v_sub_f32_e32 v18, v235, v239
	;; [unrolled: 1-line block ×3, first 2 shown]
	ds_write_b128 v24, v[5:8] offset:64
	buffer_load_dword v24, off, s[20:23], 0 offset:260 ; 4-byte Folded Reload
	v_sub_f32_e32 v5, v222, v226
	v_sub_f32_e32 v7, v223, v227
	;; [unrolled: 1-line block ×3, first 2 shown]
	v_add_f32_e32 v4, v226, v238
	v_add_f32_e32 v6, v227, v239
	;; [unrolled: 1-line block ×4, first 2 shown]
	v_sub_f32_e32 v5, v248, v252
	v_sub_f32_e32 v7, v240, v244
	v_add_f32_e32 v0, v2, v222
	v_add_f32_e32 v1, v3, v223
	v_sub_f32_e32 v12, v223, v235
	v_fma_f32 v214, -0.5, v4, v2
	v_add_f32_e32 v20, v5, v7
	v_sub_f32_e32 v5, v249, v253
	v_sub_f32_e32 v7, v241, v245
	v_fma_f32 v215, -0.5, v6, v3
	v_add_f32_e32 v4, v228, v248
	v_add_f32_e32 v0, v0, v226
	;; [unrolled: 1-line block ×5, first 2 shown]
	v_sub_f32_e32 v8, v227, v239
	v_add_f32_e32 v4, v4, v252
	v_fmamk_f32 v218, v12, 0xbf737871, v214
	v_fmamk_f32 v219, v14, 0x3f737871, v215
	v_fma_f32 v22, -0.5, v5, v228
	v_add_f32_e32 v5, v253, v245
	v_add_f32_e32 v0, v0, v238
	;; [unrolled: 1-line block ×3, first 2 shown]
	v_fmac_f32_e32 v218, 0xbf167918, v8
	v_fmamk_f32 v7, v206, 0xbf737871, v22
	v_fma_f32 v23, -0.5, v5, v229
	v_add_f32_e32 v4, v4, v244
	v_fmac_f32_e32 v219, 0x3f167918, v10
	v_add_f32_e32 v13, v222, v234
	v_fmac_f32_e32 v7, 0xbf167918, v207
	v_fmamk_f32 v5, v202, 0x3f737871, v23
	v_add_f32_e32 v0, v0, v234
	v_add_f32_e32 v1, v1, v235
	;; [unrolled: 1-line block ×3, first 2 shown]
	v_fmac_f32_e32 v7, 0x3e9e377a, v20
	v_fmac_f32_e32 v5, 0x3f167918, v203
	;; [unrolled: 1-line block ×4, first 2 shown]
	v_sub_f32_e32 v9, v226, v222
	v_mul_f32_e32 v211, 0x3f167918, v7
	v_fmac_f32_e32 v5, 0x3e9e377a, v21
	v_sub_f32_e32 v17, v238, v234
	v_add_f32_e32 v4, v0, v220
	v_fma_f32 v2, -0.5, v13, v2
	v_sub_f32_e32 v19, v239, v235
	v_mul_f32_e32 v210, 0xbf167918, v5
	v_fmac_f32_e32 v211, 0x3f4f1bbd, v5
	v_add_f32_e32 v5, v229, v249
	v_fmac_f32_e32 v3, -0.5, v15
	v_fmac_f32_e32 v23, 0xbf737871, v202
	v_fmac_f32_e32 v210, 0x3f4f1bbd, v7
	v_add_f32_e32 v7, v219, v211
	v_add_f32_e32 v5, v5, v253
	v_fmac_f32_e32 v22, 0x3f737871, v206
	v_fmac_f32_e32 v23, 0xbf167918, v203
	v_add_f32_e32 v6, v218, v210
	v_fmac_f32_e32 v214, 0x3f737871, v12
	v_add_f32_e32 v5, v5, v245
	v_fmac_f32_e32 v215, 0xbf737871, v14
	v_fmac_f32_e32 v22, 0x3f167918, v207
	;; [unrolled: 1-line block ×4, first 2 shown]
	v_add_f32_e32 v221, v5, v241
	v_fmac_f32_e32 v215, 0xbf167918, v10
	v_fmac_f32_e32 v22, 0x3e9e377a, v20
	v_add_f32_e32 v20, v254, v246
	v_fmac_f32_e32 v214, 0x3e9e377a, v16
	v_add_f32_e32 v5, v1, v221
	v_fmac_f32_e32 v215, 0x3e9e377a, v18
	v_sub_f32_e32 v16, v213, v217
	v_fma_f32 v20, -0.5, v20, v230
	v_sub_f32_e32 v21, v255, v247
	s_waitcnt vmcnt(0)
	ds_write_b128 v24, v[4:7]
	v_add_f32_e32 v4, v9, v17
	v_fmamk_f32 v9, v8, 0x3f737871, v2
	v_fmac_f32_e32 v2, 0xbf737871, v8
	v_sub_f32_e32 v5, v244, v240
	v_sub_f32_e32 v7, v245, v241
	v_mul_f32_e32 v8, 0xbf167918, v23
	v_fmac_f32_e32 v9, 0xbf167918, v12
	v_fmac_f32_e32 v2, 0x3f167918, v12
	v_sub_f32_e32 v12, v204, v212
	v_fmac_f32_e32 v8, 0xbf4f1bbd, v22
	v_fmac_f32_e32 v9, 0x3e9e377a, v4
	;; [unrolled: 1-line block ×3, first 2 shown]
	v_add_f32_e32 v4, v11, v19
	v_fmamk_f32 v11, v10, 0xbf737871, v3
	v_fmac_f32_e32 v3, 0x3f737871, v10
	v_mul_f32_e32 v10, 0xbf4f1bbd, v23
	v_sub_f32_e32 v23, v254, v250
	v_fmac_f32_e32 v11, 0x3f167918, v14
	v_fmac_f32_e32 v3, 0xbf167918, v14
	;; [unrolled: 1-line block ×3, first 2 shown]
	v_sub_f32_e32 v14, v212, v216
	v_sub_f32_e32 v22, v250, v254
	v_fmac_f32_e32 v11, 0x3e9e377a, v4
	v_fmac_f32_e32 v3, 0x3e9e377a, v4
	v_sub_f32_e32 v4, v252, v248
	v_add_f32_e32 v4, v4, v5
	v_add_f32_e32 v5, v248, v240
	v_fma_f32 v5, -0.5, v5, v228
	v_fmamk_f32 v6, v207, 0x3f737871, v5
	v_fmac_f32_e32 v5, 0xbf737871, v207
	v_add_f32_e32 v207, v250, v242
	v_fmac_f32_e32 v6, 0xbf167918, v206
	v_fmac_f32_e32 v5, 0x3f167918, v206
	v_sub_f32_e32 v206, v251, v243
	v_fmac_f32_e32 v6, 0x3e9e377a, v4
	v_fmac_f32_e32 v5, 0x3e9e377a, v4
	v_sub_f32_e32 v4, v253, v249
	v_add_f32_e32 v4, v4, v7
	v_add_f32_e32 v7, v249, v241
	v_fma_f32 v7, -0.5, v7, v229
	v_fmamk_f32 v13, v203, 0xbf737871, v7
	v_fmac_f32_e32 v7, 0x3f737871, v203
	v_sub_f32_e32 v203, v254, v246
	v_fmac_f32_e32 v13, 0x3f167918, v202
	v_fmac_f32_e32 v7, 0xbf167918, v202
	v_add_f32_e32 v202, v255, v247
	v_fmac_f32_e32 v13, 0x3e9e377a, v4
	v_fmac_f32_e32 v7, 0x3e9e377a, v4
	v_fma_f32 v202, -0.5, v202, v231
	v_mul_f32_e32 v15, 0xbf737871, v13
	v_mul_f32_e32 v13, 0x3e9e377a, v13
	;; [unrolled: 1-line block ×4, first 2 shown]
	v_fmac_f32_e32 v15, 0x3e9e377a, v6
	v_fmac_f32_e32 v13, 0x3f737871, v6
	;; [unrolled: 1-line block ×4, first 2 shown]
	v_add_f32_e32 v4, v9, v15
	v_add_f32_e32 v5, v11, v13
	;; [unrolled: 1-line block ×4, first 2 shown]
	ds_write_b128 v24, v[4:7] offset:16
	v_sub_f32_e32 v6, v0, v220
	v_sub_f32_e32 v7, v1, v221
	v_add_f32_e32 v4, v214, v8
	v_add_f32_e32 v5, v215, v10
	v_sub_f32_e32 v1, v3, v19
	v_sub_f32_e32 v0, v2, v17
	;; [unrolled: 1-line block ×4, first 2 shown]
	ds_write_b128 v24, v[4:7] offset:32
	v_sub_f32_e32 v4, v218, v210
	v_sub_f32_e32 v6, v9, v15
	;; [unrolled: 1-line block ×4, first 2 shown]
	ds_write_b128 v24, v[0:3] offset:64
	v_add_f32_e32 v0, v200, v204
	v_add_f32_e32 v1, v201, v205
	;; [unrolled: 1-line block ×3, first 2 shown]
	ds_write_b128 v24, v[4:7] offset:48
	buffer_load_dword v24, off, s[20:23], 0 offset:256 ; 4-byte Folded Reload
	v_add_f32_e32 v0, v0, v208
	v_add_f32_e32 v1, v1, v209
	v_sub_f32_e32 v3, v204, v208
	v_sub_f32_e32 v5, v208, v204
	;; [unrolled: 1-line block ×3, first 2 shown]
	v_add_f32_e32 v0, v0, v216
	v_add_f32_e32 v1, v1, v217
	v_sub_f32_e32 v208, v250, v242
	v_add_f32_e32 v6, v209, v217
	v_sub_f32_e32 v8, v205, v209
	v_add_f32_e32 v18, v0, v212
	v_add_f32_e32 v19, v1, v213
	;; [unrolled: 1-line block ×5, first 2 shown]
	v_sub_f32_e32 v15, v216, v212
	v_sub_f32_e32 v204, v251, v255
	v_add_f32_e32 v0, v0, v254
	v_add_f32_e32 v1, v1, v255
	v_sub_f32_e32 v210, v242, v246
	v_sub_f32_e32 v212, v243, v247
	;; [unrolled: 1-line block ×3, first 2 shown]
	v_add_f32_e32 v0, v0, v246
	v_add_f32_e32 v1, v1, v247
	v_add_f32_e32 v8, v8, v16
	v_add_f32_e32 v16, v22, v210
	v_add_f32_e32 v22, v204, v212
	v_add_f32_e32 v214, v0, v242
	v_add_f32_e32 v215, v1, v243
	v_fmamk_f32 v0, v208, 0x3f737871, v202
	v_fmamk_f32 v1, v206, 0xbf737871, v20
	v_fma_f32 v212, -0.5, v2, v200
	v_fma_f32 v6, -0.5, v6, v201
	v_sub_f32_e32 v4, v209, v217
	v_fmac_f32_e32 v0, 0x3f167918, v203
	v_fmac_f32_e32 v1, 0xbf167918, v21
	v_sub_f32_e32 v17, v217, v213
	v_fmamk_f32 v216, v10, 0xbf737871, v212
	v_fmamk_f32 v217, v12, 0x3f737871, v6
	v_fmac_f32_e32 v0, 0x3e9e377a, v22
	v_fmac_f32_e32 v1, 0x3e9e377a, v16
	v_add_f32_e32 v14, v3, v14
	v_fmac_f32_e32 v216, 0xbf167918, v4
	v_fmac_f32_e32 v217, 0x3f167918, v7
	v_mul_f32_e32 v204, 0xbf167918, v0
	v_mul_f32_e32 v210, 0x3f167918, v1
	v_sub_f32_e32 v9, v209, v205
	v_fmac_f32_e32 v216, 0x3e9e377a, v14
	v_fmac_f32_e32 v217, 0x3e9e377a, v8
	v_fmac_f32_e32 v204, 0x3f4f1bbd, v1
	v_fmac_f32_e32 v210, 0x3f4f1bbd, v0
	v_add_f32_e32 v0, v18, v214
	v_add_f32_e32 v1, v19, v215
	;; [unrolled: 1-line block ×6, first 2 shown]
	v_sub_f32_e32 v205, v255, v251
	v_fmac_f32_e32 v231, -0.5, v209
	v_sub_f32_e32 v213, v247, v243
	v_sub_f32_e32 v211, v246, v242
	v_fmac_f32_e32 v201, -0.5, v13
	v_fmac_f32_e32 v202, 0xbf737871, v208
	v_fmac_f32_e32 v20, 0x3f737871, v206
	;; [unrolled: 1-line block ×12, first 2 shown]
	s_waitcnt vmcnt(0)
	ds_write_b128 v24, v[0:3]
	v_add_f32_e32 v3, v5, v15
	v_fma_f32 v5, -0.5, v11, v200
	v_fmamk_f32 v1, v203, 0xbf737871, v231
	v_fmac_f32_e32 v231, 0x3f737871, v203
	v_add_f32_e32 v0, v205, v213
	v_fma_f32 v2, -0.5, v207, v230
	v_fmamk_f32 v11, v4, 0x3f737871, v5
	v_fmac_f32_e32 v5, 0xbf737871, v4
	v_fmac_f32_e32 v231, 0xbf167918, v208
	;; [unrolled: 1-line block ×3, first 2 shown]
	v_mul_f32_e32 v4, 0xbf167918, v202
	v_fmac_f32_e32 v11, 0xbf167918, v10
	v_fmac_f32_e32 v5, 0x3f167918, v10
	;; [unrolled: 1-line block ×4, first 2 shown]
	v_fmamk_f32 v0, v21, 0x3f737871, v2
	v_fmac_f32_e32 v11, 0x3e9e377a, v3
	v_fmac_f32_e32 v5, 0x3e9e377a, v3
	v_add_f32_e32 v3, v9, v17
	v_fmamk_f32 v9, v7, 0xbf737871, v201
	v_fmac_f32_e32 v201, 0x3f737871, v7
	v_fmac_f32_e32 v2, 0xbf737871, v21
	v_fmac_f32_e32 v0, 0xbf167918, v206
	v_mul_f32_e32 v205, 0xbf737871, v231
	v_fmac_f32_e32 v9, 0x3f167918, v12
	v_fmac_f32_e32 v201, 0xbf167918, v12
	;; [unrolled: 1-line block ×3, first 2 shown]
	v_mul_f32_e32 v207, 0xbe9e377a, v231
	v_mul_f32_e32 v13, 0xbf737871, v1
	v_fmac_f32_e32 v9, 0x3e9e377a, v3
	v_fmac_f32_e32 v201, 0x3e9e377a, v3
	v_add_f32_e32 v3, v23, v211
	v_mul_f32_e32 v15, 0x3e9e377a, v1
	v_mul_f32_e32 v7, 0xbf4f1bbd, v202
	v_fmac_f32_e32 v4, 0xbf4f1bbd, v20
	v_fmac_f32_e32 v0, 0x3e9e377a, v3
	;; [unrolled: 1-line block ×8, first 2 shown]
	v_add_f32_e32 v0, v11, v13
	v_add_f32_e32 v1, v9, v15
	;; [unrolled: 1-line block ×4, first 2 shown]
	ds_write_b128 v24, v[0:3] offset:16
	v_sub_f32_e32 v2, v18, v214
	v_sub_f32_e32 v3, v19, v215
	v_add_f32_e32 v0, v212, v4
	v_add_f32_e32 v1, v6, v7
	ds_write_b128 v24, v[0:3] offset:32
	v_sub_f32_e32 v0, v216, v204
	v_sub_f32_e32 v2, v11, v13
	;; [unrolled: 1-line block ×4, first 2 shown]
	ds_write_b128 v24, v[0:3] offset:48
	v_sub_f32_e32 v1, v201, v207
	v_sub_f32_e32 v0, v5, v205
	;; [unrolled: 1-line block ×4, first 2 shown]
	ds_write_b128 v24, v[0:3] offset:64
	s_waitcnt lgkmcnt(0)
	s_barrier
	buffer_gl0_inv
	buffer_load_dword v213, off, s[20:23], 0 offset:584 ; 4-byte Folded Reload
	s_waitcnt vmcnt(0)
	ds_read2_b64 v[0:3], v213 offset0:42 offset1:123
	s_clause 0x4
	buffer_load_dword v9, off, s[20:23], 0 offset:500
	buffer_load_dword v10, off, s[20:23], 0 offset:504
	;; [unrolled: 1-line block ×5, first 2 shown]
	s_waitcnt vmcnt(3) lgkmcnt(0)
	v_mul_f32_e32 v8, v10, v1
	s_waitcnt vmcnt(0)
	ds_read2_b64 v[4:7], v27 offset0:84 offset1:165
	v_fmac_f32_e32 v8, v9, v0
	v_mul_f32_e32 v0, v10, v0
	v_fma_f32 v9, v9, v1, -v0
	s_waitcnt lgkmcnt(0)
	v_mul_f32_e32 v10, v12, v5
	v_mul_f32_e32 v0, v12, v4
	s_clause 0xf
	buffer_load_dword v12, off, s[20:23], 0 offset:484
	buffer_load_dword v13, off, s[20:23], 0 offset:488
	;; [unrolled: 1-line block ×16, first 2 shown]
	v_fmac_f32_e32 v10, v11, v4
	v_fma_f32 v11, v11, v5, -v0
	v_sub_f32_e32 v205, v8, v10
	s_waitcnt vmcnt(14)
	v_mul_f32_e32 v0, v13, v2
	v_mul_f32_e32 v200, v13, v3
	s_waitcnt vmcnt(12)
	v_mul_f32_e32 v202, v15, v7
	v_fma_f32 v201, v12, v3, -v0
	v_mul_f32_e32 v0, v15, v6
	v_fmac_f32_e32 v200, v12, v2
	v_fmac_f32_e32 v202, v14, v6
	v_fma_f32 v203, v14, v7, -v0
	s_waitcnt vmcnt(11)
	ds_read2_b64 v[0:3], v208 offset0:76 offset1:157
	s_waitcnt vmcnt(10)
	ds_read2_b64 v[4:7], v25 offset0:118 offset1:199
	;; [unrolled: 2-line block ×3, first 2 shown]
	ds_read2_b64 v[16:19], v215 offset0:136 offset1:217
	s_waitcnt lgkmcnt(3)
	v_mul_f32_e32 v204, v173, v1
	v_fmac_f32_e32 v204, v172, v0
	v_mul_f32_e32 v0, v173, v0
	s_waitcnt lgkmcnt(2)
	v_mul_f32_e32 v173, v175, v5
	v_fma_f32 v172, v172, v1, -v0
	v_mul_f32_e32 v0, v175, v4
	v_fmac_f32_e32 v173, v174, v4
	v_mul_f32_e32 v175, v169, v3
	v_fma_f32 v174, v174, v5, -v0
	v_mul_f32_e32 v0, v169, v2
	v_fmac_f32_e32 v175, v168, v2
	v_mul_f32_e32 v169, v171, v7
	v_fma_f32 v168, v168, v3, -v0
	v_mul_f32_e32 v0, v171, v6
	v_fmac_f32_e32 v169, v170, v6
	v_fma_f32 v170, v170, v7, -v0
	ds_read2_b64 v[0:3], v212 offset0:110 offset1:191
	ds_read2_b64 v[4:7], v206 offset0:152 offset1:233
	s_waitcnt lgkmcnt(1)
	v_mul_f32_e32 v171, v181, v1
	v_fmac_f32_e32 v171, v180, v0
	v_mul_f32_e32 v0, v181, v0
	s_waitcnt lgkmcnt(0)
	v_mul_f32_e32 v181, v183, v5
	v_fma_f32 v180, v180, v1, -v0
	v_mul_f32_e32 v0, v183, v4
	v_fmac_f32_e32 v181, v182, v4
	v_mul_f32_e32 v183, v177, v3
	v_fma_f32 v182, v182, v5, -v0
	v_mul_f32_e32 v0, v177, v2
	v_fmac_f32_e32 v183, v176, v2
	v_mul_f32_e32 v177, v179, v7
	v_fma_f32 v176, v176, v3, -v0
	v_mul_f32_e32 v0, v179, v6
	v_fmac_f32_e32 v177, v178, v6
	v_fma_f32 v178, v178, v7, -v0
	ds_read2_b64 v[0:3], v214 offset0:16 offset1:97
	;; [unrolled: 20-line block ×3, first 2 shown]
	ds_read2_b64 v[4:7], v24 offset0:92 offset1:173
	s_waitcnt lgkmcnt(1)
	v_mul_f32_e32 v187, v197, v1
	v_fmac_f32_e32 v187, v196, v0
	v_mul_f32_e32 v0, v197, v0
	s_waitcnt lgkmcnt(0)
	v_mul_f32_e32 v197, v199, v5
	v_fma_f32 v196, v196, v1, -v0
	v_mul_f32_e32 v0, v199, v4
	v_fmac_f32_e32 v197, v198, v4
	v_mul_f32_e32 v199, v193, v3
	v_fma_f32 v198, v198, v5, -v0
	v_mul_f32_e32 v0, v193, v2
	v_fmac_f32_e32 v199, v192, v2
	;; [unrolled: 4-line block ×3, first 2 shown]
	v_sub_f32_e32 v195, v9, v11
	v_fma_f32 v194, v194, v7, -v0
	ds_read2_b64 v[0:3], v210 offset1:81
	s_waitcnt lgkmcnt(0)
	v_add_f32_e32 v4, v0, v8
	v_add_f32_e32 v5, v1, v9
	;; [unrolled: 1-line block ×6, first 2 shown]
	ds_read2_b64 v[8:11], v216 offset0:68 offset1:149
	v_fma_f32 v1, -0.5, v4, v1
	v_fma_f32 v0, -0.5, v5, v0
	ds_read2_b64 v[4:7], v210 offset0:162 offset1:243
	s_waitcnt lgkmcnt(0)
	s_barrier
	buffer_gl0_inv
	buffer_load_dword v209, off, s[20:23], 0 offset:480 ; 4-byte Folded Reload
	v_fmamk_f32 v22, v195, 0xbf5db3d7, v0
	v_fmac_f32_e32 v0, 0x3f5db3d7, v195
	buffer_load_dword v195, off, s[20:23], 0 offset:476 ; 4-byte Folded Reload
	v_fmamk_f32 v23, v205, 0x3f5db3d7, v1
	v_fmac_f32_e32 v1, 0xbf5db3d7, v205
	s_waitcnt vmcnt(1)
	ds_write2_b64 v209, v[20:21], v[22:23] offset1:10
	ds_write_b64 v209, v[0:1] offset:160
	v_add_f32_e32 v0, v200, v202
	v_add_f32_e32 v1, v2, v200
	;; [unrolled: 1-line block ×3, first 2 shown]
	v_sub_f32_e32 v22, v201, v203
	v_sub_f32_e32 v23, v200, v202
	v_fma_f32 v2, -0.5, v0, v2
	v_add_f32_e32 v0, v1, v202
	v_add_f32_e32 v1, v20, v203
	;; [unrolled: 1-line block ×3, first 2 shown]
	v_fmac_f32_e32 v3, -0.5, v20
	v_fmamk_f32 v20, v22, 0xbf5db3d7, v2
	v_fmac_f32_e32 v2, 0x3f5db3d7, v22
	buffer_load_dword v22, off, s[20:23], 0 offset:472 ; 4-byte Folded Reload
	v_fmamk_f32 v21, v23, 0x3f5db3d7, v3
	v_fmac_f32_e32 v3, 0xbf5db3d7, v23
	s_waitcnt vmcnt(1)
	ds_write2_b64 v195, v[0:1], v[20:21] offset1:10
	ds_write_b64 v195, v[2:3] offset:160
	v_add_f32_e32 v2, v204, v173
	v_sub_f32_e32 v20, v172, v174
	v_add_f32_e32 v0, v4, v204
	v_add_f32_e32 v3, v172, v174
	;; [unrolled: 1-line block ×3, first 2 shown]
	v_fma_f32 v2, -0.5, v2, v4
	v_sub_f32_e32 v21, v204, v173
	v_add_f32_e32 v0, v0, v173
	v_fma_f32 v3, -0.5, v3, v5
	v_add_f32_e32 v1, v1, v174
	v_fmamk_f32 v4, v20, 0xbf5db3d7, v2
	v_fmac_f32_e32 v2, 0x3f5db3d7, v20
	buffer_load_dword v20, off, s[20:23], 0 offset:468 ; 4-byte Folded Reload
	v_fmamk_f32 v5, v21, 0x3f5db3d7, v3
	v_fmac_f32_e32 v3, 0xbf5db3d7, v21
	s_waitcnt vmcnt(1)
	ds_write2_b64 v22, v[0:1], v[4:5] offset1:10
	ds_write_b64 v22, v[2:3] offset:160
	v_add_f32_e32 v0, v175, v169
	v_add_f32_e32 v1, v6, v175
	;; [unrolled: 1-line block ×3, first 2 shown]
	v_sub_f32_e32 v4, v168, v170
	v_sub_f32_e32 v5, v175, v169
	v_fma_f32 v6, -0.5, v0, v6
	v_add_f32_e32 v0, v1, v169
	v_add_f32_e32 v1, v2, v170
	;; [unrolled: 1-line block ×3, first 2 shown]
	v_mov_b32_e32 v168, v24
	v_mov_b32_e32 v169, v25
	;; [unrolled: 1-line block ×3, first 2 shown]
	v_fmac_f32_e32 v7, -0.5, v2
	v_fmamk_f32 v2, v4, 0xbf5db3d7, v6
	v_fmac_f32_e32 v6, 0x3f5db3d7, v4
	v_fmamk_f32 v3, v5, 0x3f5db3d7, v7
	v_fmac_f32_e32 v7, 0xbf5db3d7, v5
	s_waitcnt vmcnt(0)
	ds_write2_b64 v20, v[0:1], v[2:3] offset1:10
	v_add_f32_e32 v2, v171, v181
	v_add_f32_e32 v0, v8, v171
	ds_write_b64 v20, v[6:7] offset:160
	v_sub_f32_e32 v6, v180, v182
	v_add_f32_e32 v3, v180, v182
	v_fma_f32 v2, -0.5, v2, v8
	buffer_load_dword v8, off, s[20:23], 0 offset:464 ; 4-byte Folded Reload
	v_add_f32_e32 v1, v9, v180
	v_sub_f32_e32 v7, v171, v181
	v_fma_f32 v3, -0.5, v3, v9
	v_fmamk_f32 v4, v6, 0xbf5db3d7, v2
	v_fmac_f32_e32 v2, 0x3f5db3d7, v6
	buffer_load_dword v6, off, s[20:23], 0 offset:444 ; 4-byte Folded Reload
	v_add_f32_e32 v0, v0, v181
	v_add_f32_e32 v1, v1, v182
	v_fmamk_f32 v5, v7, 0x3f5db3d7, v3
	v_fmac_f32_e32 v3, 0xbf5db3d7, v7
	v_sub_f32_e32 v7, v179, v189
	v_mov_b32_e32 v171, v27
	s_waitcnt vmcnt(1)
	ds_write2_b64 v8, v[0:1], v[4:5] offset1:10
	ds_write_b64 v8, v[2:3] offset:160
	buffer_load_dword v8, off, s[20:23], 0 offset:440 ; 4-byte Folded Reload
	v_add_f32_e32 v0, v183, v177
	v_add_f32_e32 v1, v10, v183
	v_add_f32_e32 v2, v11, v176
	v_sub_f32_e32 v4, v176, v178
	v_sub_f32_e32 v5, v183, v177
	v_fma_f32 v10, -0.5, v0, v10
	v_add_f32_e32 v0, v1, v177
	v_add_f32_e32 v1, v2, v178
	;; [unrolled: 1-line block ×3, first 2 shown]
	v_fmac_f32_e32 v11, -0.5, v2
	v_fmamk_f32 v2, v4, 0xbf5db3d7, v10
	v_fmac_f32_e32 v10, 0x3f5db3d7, v4
	v_fmamk_f32 v3, v5, 0x3f5db3d7, v11
	v_fmac_f32_e32 v11, 0xbf5db3d7, v5
	s_waitcnt vmcnt(1)
	ds_write2_b64 v6, v[0:1], v[2:3] offset1:10
	v_add_f32_e32 v2, v179, v189
	ds_write_b64 v6, v[10:11] offset:160
	v_sub_f32_e32 v6, v188, v190
	v_add_f32_e32 v3, v188, v190
	v_add_f32_e32 v0, v12, v179
	v_fma_f32 v2, -0.5, v2, v12
	v_add_f32_e32 v1, v13, v188
	v_fma_f32 v3, -0.5, v3, v13
	v_add_f32_e32 v0, v0, v189
	v_fmamk_f32 v4, v6, 0xbf5db3d7, v2
	v_fmac_f32_e32 v2, 0x3f5db3d7, v6
	buffer_load_dword v6, off, s[20:23], 0 offset:436 ; 4-byte Folded Reload
	v_add_f32_e32 v1, v1, v190
	v_fmamk_f32 v5, v7, 0x3f5db3d7, v3
	v_fmac_f32_e32 v3, 0xbf5db3d7, v7
	v_sub_f32_e32 v7, v187, v197
	s_waitcnt vmcnt(1)
	ds_write2_b64 v8, v[0:1], v[4:5] offset1:10
	ds_write_b64 v8, v[2:3] offset:160
	buffer_load_dword v8, off, s[20:23], 0 offset:416 ; 4-byte Folded Reload
	v_add_f32_e32 v0, v191, v185
	v_add_f32_e32 v1, v14, v191
	;; [unrolled: 1-line block ×3, first 2 shown]
	v_sub_f32_e32 v4, v184, v186
	v_sub_f32_e32 v5, v191, v185
	v_fma_f32 v14, -0.5, v0, v14
	v_add_f32_e32 v0, v1, v185
	v_add_f32_e32 v1, v2, v186
	;; [unrolled: 1-line block ×3, first 2 shown]
	v_fmac_f32_e32 v15, -0.5, v2
	v_fmamk_f32 v2, v4, 0xbf5db3d7, v14
	v_fmac_f32_e32 v14, 0x3f5db3d7, v4
	v_fmamk_f32 v3, v5, 0x3f5db3d7, v15
	v_fmac_f32_e32 v15, 0xbf5db3d7, v5
	s_waitcnt vmcnt(1)
	ds_write2_b64 v6, v[0:1], v[2:3] offset1:10
	v_add_f32_e32 v2, v187, v197
	ds_write_b64 v6, v[14:15] offset:160
	v_sub_f32_e32 v6, v196, v198
	v_add_f32_e32 v3, v196, v198
	v_add_f32_e32 v0, v16, v187
	v_fma_f32 v2, -0.5, v2, v16
	v_add_f32_e32 v1, v17, v196
	v_fma_f32 v3, -0.5, v3, v17
	v_add_f32_e32 v0, v0, v197
	v_fmamk_f32 v4, v6, 0xbf5db3d7, v2
	v_fmac_f32_e32 v2, 0x3f5db3d7, v6
	buffer_load_dword v6, off, s[20:23], 0 offset:412 ; 4-byte Folded Reload
	v_add_f32_e32 v1, v1, v198
	v_fmamk_f32 v5, v7, 0x3f5db3d7, v3
	v_fmac_f32_e32 v3, 0xbf5db3d7, v7
	s_waitcnt vmcnt(1)
	ds_write2_b64 v8, v[0:1], v[4:5] offset1:10
	ds_write_b64 v8, v[2:3] offset:160
	v_add_f32_e32 v0, v199, v193
	v_add_f32_e32 v1, v18, v199
	;; [unrolled: 1-line block ×3, first 2 shown]
	v_sub_f32_e32 v4, v192, v194
	v_sub_f32_e32 v5, v199, v193
	v_fma_f32 v18, -0.5, v0, v18
	v_add_f32_e32 v0, v1, v193
	v_add_f32_e32 v1, v2, v194
	;; [unrolled: 1-line block ×3, first 2 shown]
	v_fmac_f32_e32 v19, -0.5, v2
	v_fmamk_f32 v2, v4, 0xbf5db3d7, v18
	v_fmac_f32_e32 v18, 0x3f5db3d7, v4
	v_fmamk_f32 v3, v5, 0x3f5db3d7, v19
	v_fmac_f32_e32 v19, 0xbf5db3d7, v5
	s_waitcnt vmcnt(0)
	ds_write2_b64 v6, v[0:1], v[2:3] offset1:10
	ds_write_b64 v6, v[18:19] offset:160
	s_waitcnt lgkmcnt(0)
	s_barrier
	buffer_gl0_inv
	ds_read2_b64 v[0:3], v213 offset0:42 offset1:123
	ds_read2_b64 v[4:7], v27 offset0:84 offset1:165
	s_waitcnt lgkmcnt(1)
	v_mul_f32_e32 v8, v101, v1
	s_waitcnt lgkmcnt(0)
	v_mul_f32_e32 v10, v103, v5
	v_fmac_f32_e32 v8, v100, v0
	v_mul_f32_e32 v0, v101, v0
	v_fmac_f32_e32 v10, v102, v4
	v_fma_f32 v9, v100, v1, -v0
	v_mul_f32_e32 v0, v103, v4
	v_mul_f32_e32 v100, v97, v3
	v_fma_f32 v11, v102, v5, -v0
	v_mul_f32_e32 v0, v97, v2
	v_fmac_f32_e32 v100, v96, v2
	v_mul_f32_e32 v97, v99, v7
	v_fma_f32 v96, v96, v3, -v0
	v_mul_f32_e32 v0, v99, v6
	v_fmac_f32_e32 v97, v98, v6
	v_fma_f32 v98, v98, v7, -v0
	ds_read2_b64 v[0:3], v208 offset0:76 offset1:157
	ds_read2_b64 v[4:7], v25 offset0:118 offset1:199
	s_waitcnt lgkmcnt(1)
	v_mul_f32_e32 v99, v113, v1
	s_waitcnt lgkmcnt(0)
	v_mul_f32_e32 v102, v115, v5
	v_fmac_f32_e32 v99, v112, v0
	v_mul_f32_e32 v0, v113, v0
	v_fmac_f32_e32 v102, v114, v4
	v_fma_f32 v101, v112, v1, -v0
	v_mul_f32_e32 v0, v115, v4
	v_mul_f32_e32 v112, v109, v3
	v_fma_f32 v103, v114, v5, -v0
	v_mul_f32_e32 v0, v109, v2
	v_fmac_f32_e32 v112, v108, v2
	v_mul_f32_e32 v109, v111, v7
	v_fma_f32 v108, v108, v3, -v0
	v_mul_f32_e32 v0, v111, v6
	v_fmac_f32_e32 v109, v110, v6
	v_fma_f32 v110, v110, v7, -v0
	;; [unrolled: 20-line block ×4, first 2 shown]
	ds_read2_b64 v[0:3], v207 offset0:50 offset1:131
	ds_read2_b64 v[4:7], v24 offset0:92 offset1:173
	s_waitcnt lgkmcnt(1)
	v_mul_f32_e32 v131, v141, v1
	s_waitcnt lgkmcnt(0)
	v_mul_f32_e32 v134, v143, v5
	v_fmac_f32_e32 v131, v140, v0
	v_mul_f32_e32 v0, v141, v0
	v_fmac_f32_e32 v134, v142, v4
	v_sub_f32_e32 v141, v8, v10
	v_fma_f32 v133, v140, v1, -v0
	v_mul_f32_e32 v0, v143, v4
	v_mul_f32_e32 v140, v137, v3
	v_fma_f32 v135, v142, v5, -v0
	v_mul_f32_e32 v0, v137, v2
	v_fmac_f32_e32 v140, v136, v2
	v_mul_f32_e32 v137, v139, v7
	v_fma_f32 v136, v136, v3, -v0
	v_mul_f32_e32 v0, v139, v6
	v_fmac_f32_e32 v137, v138, v6
	v_sub_f32_e32 v139, v9, v11
	v_fma_f32 v138, v138, v7, -v0
	ds_read2_b64 v[0:3], v210 offset1:81
	s_waitcnt lgkmcnt(0)
	v_add_f32_e32 v4, v0, v8
	v_add_f32_e32 v5, v1, v9
	;; [unrolled: 1-line block ×6, first 2 shown]
	v_fma_f32 v1, -0.5, v4, v1
	v_fma_f32 v0, -0.5, v5, v0
	ds_read2_b64 v[4:7], v210 offset0:162 offset1:243
	ds_read2_b64 v[8:11], v216 offset0:68 offset1:149
	;; [unrolled: 1-line block ×4, first 2 shown]
	s_waitcnt lgkmcnt(0)
	s_barrier
	buffer_gl0_inv
	buffer_load_dword v24, off, s[20:23], 0 offset:408 ; 4-byte Folded Reload
	v_fmamk_f32 v22, v139, 0xbf5db3d7, v0
	v_fmamk_f32 v23, v141, 0x3f5db3d7, v1
	v_fmac_f32_e32 v0, 0x3f5db3d7, v139
	v_fmac_f32_e32 v1, 0xbf5db3d7, v141
	s_waitcnt vmcnt(0)
	ds_write2_b64 v24, v[20:21], v[22:23] offset1:30
	ds_write_b64 v24, v[0:1] offset:480
	buffer_load_dword v24, off, s[20:23], 0 offset:404 ; 4-byte Folded Reload
	v_add_f32_e32 v0, v100, v97
	v_add_f32_e32 v1, v2, v100
	;; [unrolled: 1-line block ×3, first 2 shown]
	v_sub_f32_e32 v22, v96, v98
	v_sub_f32_e32 v23, v100, v97
	v_fma_f32 v2, -0.5, v0, v2
	v_add_f32_e32 v0, v1, v97
	v_add_f32_e32 v1, v20, v98
	;; [unrolled: 1-line block ×3, first 2 shown]
	v_fmac_f32_e32 v3, -0.5, v20
	v_fmamk_f32 v20, v22, 0xbf5db3d7, v2
	v_fmac_f32_e32 v2, 0x3f5db3d7, v22
	buffer_load_dword v22, off, s[20:23], 0 offset:400 ; 4-byte Folded Reload
	v_fmamk_f32 v21, v23, 0x3f5db3d7, v3
	v_fmac_f32_e32 v3, 0xbf5db3d7, v23
	s_waitcnt vmcnt(1)
	ds_write_b64 v24, v[2:3] offset:480
	v_add_f32_e32 v2, v99, v102
	ds_write2_b64 v24, v[0:1], v[20:21] offset1:30
	v_sub_f32_e32 v20, v101, v103
	v_add_f32_e32 v0, v4, v99
	v_add_f32_e32 v3, v101, v103
	v_fma_f32 v2, -0.5, v2, v4
	v_add_f32_e32 v1, v5, v101
	v_sub_f32_e32 v21, v99, v102
	v_add_f32_e32 v0, v0, v102
	v_fma_f32 v3, -0.5, v3, v5
	v_fmamk_f32 v4, v20, 0xbf5db3d7, v2
	v_fmac_f32_e32 v2, 0x3f5db3d7, v20
	buffer_load_dword v20, off, s[20:23], 0 offset:396 ; 4-byte Folded Reload
	v_add_f32_e32 v1, v1, v103
	v_fmamk_f32 v5, v21, 0x3f5db3d7, v3
	v_fmac_f32_e32 v3, 0xbf5db3d7, v21
	s_waitcnt vmcnt(1)
	ds_write2_b64 v22, v[0:1], v[4:5] offset1:30
	ds_write_b64 v22, v[2:3] offset:480
	v_add_f32_e32 v0, v112, v109
	v_add_f32_e32 v1, v6, v112
	;; [unrolled: 1-line block ×3, first 2 shown]
	v_sub_f32_e32 v4, v108, v110
	v_sub_f32_e32 v5, v112, v109
	v_fma_f32 v6, -0.5, v0, v6
	v_add_f32_e32 v0, v1, v109
	v_add_f32_e32 v1, v2, v110
	;; [unrolled: 1-line block ×3, first 2 shown]
	v_fmac_f32_e32 v7, -0.5, v2
	v_fmamk_f32 v2, v4, 0xbf5db3d7, v6
	v_fmac_f32_e32 v6, 0x3f5db3d7, v4
	v_fmamk_f32 v3, v5, 0x3f5db3d7, v7
	v_fmac_f32_e32 v7, 0xbf5db3d7, v5
	s_waitcnt vmcnt(0)
	ds_write2_b64 v20, v[0:1], v[2:3] offset1:30
	v_add_f32_e32 v2, v111, v114
	v_add_f32_e32 v0, v8, v111
	ds_write_b64 v20, v[6:7] offset:480
	v_sub_f32_e32 v6, v113, v115
	v_add_f32_e32 v3, v113, v115
	v_fma_f32 v2, -0.5, v2, v8
	buffer_load_dword v8, off, s[20:23], 0 offset:392 ; 4-byte Folded Reload
	v_add_f32_e32 v1, v9, v113
	v_sub_f32_e32 v7, v111, v114
	v_fma_f32 v3, -0.5, v3, v9
	v_fmamk_f32 v4, v6, 0xbf5db3d7, v2
	v_fmac_f32_e32 v2, 0x3f5db3d7, v6
	buffer_load_dword v6, off, s[20:23], 0 offset:388 ; 4-byte Folded Reload
	v_add_f32_e32 v0, v0, v114
	v_add_f32_e32 v1, v1, v115
	v_fmamk_f32 v5, v7, 0x3f5db3d7, v3
	v_fmac_f32_e32 v3, 0xbf5db3d7, v7
	v_sub_f32_e32 v7, v123, v126
	s_waitcnt vmcnt(1)
	ds_write2_b64 v8, v[0:1], v[4:5] offset1:30
	ds_write_b64 v8, v[2:3] offset:480
	buffer_load_dword v8, off, s[20:23], 0 offset:384 ; 4-byte Folded Reload
	v_add_f32_e32 v0, v124, v121
	v_add_f32_e32 v1, v10, v124
	;; [unrolled: 1-line block ×3, first 2 shown]
	v_sub_f32_e32 v4, v120, v122
	v_sub_f32_e32 v5, v124, v121
	v_fma_f32 v10, -0.5, v0, v10
	v_add_f32_e32 v0, v1, v121
	v_add_f32_e32 v1, v2, v122
	;; [unrolled: 1-line block ×3, first 2 shown]
	v_fmac_f32_e32 v11, -0.5, v2
	v_fmamk_f32 v2, v4, 0xbf5db3d7, v10
	v_fmac_f32_e32 v10, 0x3f5db3d7, v4
	v_fmamk_f32 v3, v5, 0x3f5db3d7, v11
	v_fmac_f32_e32 v11, 0xbf5db3d7, v5
	s_waitcnt vmcnt(1)
	ds_write2_b64 v6, v[0:1], v[2:3] offset1:30
	v_add_f32_e32 v2, v123, v126
	ds_write_b64 v6, v[10:11] offset:480
	v_sub_f32_e32 v6, v125, v127
	v_add_f32_e32 v3, v125, v127
	v_add_f32_e32 v0, v12, v123
	v_fma_f32 v2, -0.5, v2, v12
	v_add_f32_e32 v1, v13, v125
	v_fma_f32 v3, -0.5, v3, v13
	v_add_f32_e32 v0, v0, v126
	v_fmamk_f32 v4, v6, 0xbf5db3d7, v2
	v_fmac_f32_e32 v2, 0x3f5db3d7, v6
	buffer_load_dword v6, off, s[20:23], 0 offset:380 ; 4-byte Folded Reload
	v_add_f32_e32 v1, v1, v127
	v_fmamk_f32 v5, v7, 0x3f5db3d7, v3
	v_fmac_f32_e32 v3, 0xbf5db3d7, v7
	v_sub_f32_e32 v7, v131, v134
	s_waitcnt vmcnt(1)
	ds_write2_b64 v8, v[0:1], v[4:5] offset1:30
	ds_write_b64 v8, v[2:3] offset:480
	buffer_load_dword v8, off, s[20:23], 0 offset:376 ; 4-byte Folded Reload
	v_add_f32_e32 v0, v132, v129
	v_add_f32_e32 v1, v14, v132
	;; [unrolled: 1-line block ×3, first 2 shown]
	v_sub_f32_e32 v4, v128, v130
	v_sub_f32_e32 v5, v132, v129
	v_fma_f32 v14, -0.5, v0, v14
	v_add_f32_e32 v0, v1, v129
	v_add_f32_e32 v1, v2, v130
	;; [unrolled: 1-line block ×3, first 2 shown]
	v_fmac_f32_e32 v15, -0.5, v2
	v_fmamk_f32 v2, v4, 0xbf5db3d7, v14
	v_fmac_f32_e32 v14, 0x3f5db3d7, v4
	v_fmamk_f32 v3, v5, 0x3f5db3d7, v15
	v_fmac_f32_e32 v15, 0xbf5db3d7, v5
	s_waitcnt vmcnt(1)
	ds_write2_b64 v6, v[0:1], v[2:3] offset1:30
	v_add_f32_e32 v2, v131, v134
	ds_write_b64 v6, v[14:15] offset:480
	v_sub_f32_e32 v6, v133, v135
	v_add_f32_e32 v3, v133, v135
	v_add_f32_e32 v0, v16, v131
	v_fma_f32 v2, -0.5, v2, v16
	v_add_f32_e32 v1, v17, v133
	v_fma_f32 v3, -0.5, v3, v17
	v_add_f32_e32 v0, v0, v134
	v_fmamk_f32 v4, v6, 0xbf5db3d7, v2
	v_fmac_f32_e32 v2, 0x3f5db3d7, v6
	buffer_load_dword v6, off, s[20:23], 0 offset:372 ; 4-byte Folded Reload
	v_add_f32_e32 v1, v1, v135
	v_fmamk_f32 v5, v7, 0x3f5db3d7, v3
	v_fmac_f32_e32 v3, 0xbf5db3d7, v7
	s_waitcnt vmcnt(1)
	ds_write2_b64 v8, v[0:1], v[4:5] offset1:30
	ds_write_b64 v8, v[2:3] offset:480
	v_add_f32_e32 v0, v140, v137
	v_add_f32_e32 v1, v18, v140
	;; [unrolled: 1-line block ×3, first 2 shown]
	v_sub_f32_e32 v4, v136, v138
	v_sub_f32_e32 v5, v140, v137
	v_fma_f32 v18, -0.5, v0, v18
	v_add_f32_e32 v0, v1, v137
	v_add_f32_e32 v1, v2, v138
	;; [unrolled: 1-line block ×3, first 2 shown]
	v_fmac_f32_e32 v19, -0.5, v2
	v_fmamk_f32 v2, v4, 0xbf5db3d7, v18
	v_fmac_f32_e32 v18, 0x3f5db3d7, v4
	v_fmamk_f32 v3, v5, 0x3f5db3d7, v19
	v_fmac_f32_e32 v19, 0xbf5db3d7, v5
	s_waitcnt vmcnt(0)
	ds_write2_b64 v6, v[0:1], v[2:3] offset1:30
	ds_write_b64 v6, v[18:19] offset:480
	s_waitcnt lgkmcnt(0)
	s_barrier
	buffer_gl0_inv
	ds_read2_b64 v[0:3], v213 offset0:42 offset1:123
	ds_read2_b64 v[4:7], v27 offset0:84 offset1:165
	s_waitcnt lgkmcnt(1)
	v_mul_f32_e32 v8, v61, v1
	s_waitcnt lgkmcnt(0)
	v_mul_f32_e32 v10, v63, v5
	v_fmac_f32_e32 v8, v60, v0
	v_mul_f32_e32 v0, v61, v0
	v_fmac_f32_e32 v10, v62, v4
	v_fma_f32 v9, v60, v1, -v0
	v_mul_f32_e32 v0, v63, v4
	v_mul_f32_e32 v60, v57, v3
	v_fma_f32 v11, v62, v5, -v0
	v_mul_f32_e32 v0, v57, v2
	v_fmac_f32_e32 v60, v56, v2
	v_mul_f32_e32 v57, v59, v7
	v_fma_f32 v56, v56, v3, -v0
	v_mul_f32_e32 v0, v59, v6
	v_fmac_f32_e32 v57, v58, v6
	v_fma_f32 v58, v58, v7, -v0
	ds_read2_b64 v[0:3], v208 offset0:76 offset1:157
	ds_read2_b64 v[4:7], v25 offset0:118 offset1:199
	s_waitcnt lgkmcnt(1)
	v_mul_f32_e32 v59, v69, v1
	s_waitcnt lgkmcnt(0)
	v_mul_f32_e32 v62, v71, v5
	v_fmac_f32_e32 v59, v68, v0
	v_mul_f32_e32 v0, v69, v0
	v_fmac_f32_e32 v62, v70, v4
	v_fma_f32 v61, v68, v1, -v0
	v_mul_f32_e32 v0, v71, v4
	v_mul_f32_e32 v68, v65, v3
	v_fma_f32 v63, v70, v5, -v0
	v_mul_f32_e32 v0, v65, v2
	v_fmac_f32_e32 v68, v64, v2
	v_mul_f32_e32 v65, v67, v7
	v_fma_f32 v64, v64, v3, -v0
	v_mul_f32_e32 v0, v67, v6
	v_fmac_f32_e32 v65, v66, v6
	v_fma_f32 v66, v66, v7, -v0
	;; [unrolled: 20-line block ×4, first 2 shown]
	ds_read2_b64 v[0:3], v207 offset0:50 offset1:131
	ds_read2_b64 v[4:7], v168 offset0:92 offset1:173
	s_waitcnt lgkmcnt(1)
	v_mul_f32_e32 v83, v93, v1
	s_waitcnt lgkmcnt(0)
	v_mul_f32_e32 v86, v95, v5
	v_fmac_f32_e32 v83, v92, v0
	v_mul_f32_e32 v0, v93, v0
	v_fmac_f32_e32 v86, v94, v4
	v_sub_f32_e32 v93, v8, v10
	v_fma_f32 v85, v92, v1, -v0
	v_mul_f32_e32 v0, v95, v4
	v_mul_f32_e32 v92, v89, v3
	v_fma_f32 v87, v94, v5, -v0
	v_mul_f32_e32 v0, v89, v2
	v_fmac_f32_e32 v92, v88, v2
	v_mul_f32_e32 v89, v91, v7
	v_fma_f32 v88, v88, v3, -v0
	v_mul_f32_e32 v0, v91, v6
	v_fmac_f32_e32 v89, v90, v6
	v_sub_f32_e32 v91, v9, v11
	v_fma_f32 v90, v90, v7, -v0
	ds_read2_b64 v[0:3], v210 offset1:81
	s_waitcnt lgkmcnt(0)
	v_add_f32_e32 v4, v0, v8
	v_add_f32_e32 v5, v1, v9
	;; [unrolled: 1-line block ×6, first 2 shown]
	v_fma_f32 v1, -0.5, v4, v1
	v_fma_f32 v0, -0.5, v5, v0
	ds_read2_b64 v[4:7], v210 offset0:162 offset1:243
	ds_read2_b64 v[8:11], v216 offset0:68 offset1:149
	;; [unrolled: 1-line block ×4, first 2 shown]
	s_waitcnt lgkmcnt(0)
	s_barrier
	buffer_gl0_inv
	buffer_load_dword v24, off, s[20:23], 0 offset:352 ; 4-byte Folded Reload
	v_fmamk_f32 v22, v91, 0xbf5db3d7, v0
	v_fmamk_f32 v23, v93, 0x3f5db3d7, v1
	v_fmac_f32_e32 v0, 0x3f5db3d7, v91
	v_fmac_f32_e32 v1, 0xbf5db3d7, v93
	ds_write2_b64 v210, v[20:21], v[22:23] offset1:90
	v_add_f32_e32 v20, v3, v56
	ds_write_b64 v210, v[0:1] offset:1440
	v_add_f32_e32 v0, v60, v57
	v_add_f32_e32 v1, v2, v60
	v_sub_f32_e32 v22, v56, v58
	v_sub_f32_e32 v23, v60, v57
	v_fma_f32 v2, -0.5, v0, v2
	v_add_f32_e32 v0, v1, v57
	v_add_f32_e32 v1, v20, v58
	;; [unrolled: 1-line block ×3, first 2 shown]
	v_fmac_f32_e32 v3, -0.5, v20
	v_fmamk_f32 v20, v22, 0xbf5db3d7, v2
	v_fmac_f32_e32 v2, 0x3f5db3d7, v22
	buffer_load_dword v22, off, s[20:23], 0 offset:348 ; 4-byte Folded Reload
	v_fmamk_f32 v21, v23, 0x3f5db3d7, v3
	v_fmac_f32_e32 v3, 0xbf5db3d7, v23
	s_waitcnt vmcnt(1)
	ds_write_b64 v24, v[2:3] offset:1440
	v_add_f32_e32 v2, v59, v62
	ds_write2_b64 v24, v[0:1], v[20:21] offset1:90
	v_sub_f32_e32 v20, v61, v63
	v_add_f32_e32 v0, v4, v59
	v_add_f32_e32 v3, v61, v63
	v_fma_f32 v2, -0.5, v2, v4
	v_add_f32_e32 v1, v5, v61
	v_sub_f32_e32 v21, v59, v62
	v_add_f32_e32 v0, v0, v62
	v_fma_f32 v3, -0.5, v3, v5
	v_fmamk_f32 v4, v20, 0xbf5db3d7, v2
	v_fmac_f32_e32 v2, 0x3f5db3d7, v20
	buffer_load_dword v20, off, s[20:23], 0 offset:344 ; 4-byte Folded Reload
	v_add_f32_e32 v1, v1, v63
	v_fmamk_f32 v5, v21, 0x3f5db3d7, v3
	v_fmac_f32_e32 v3, 0xbf5db3d7, v21
	s_waitcnt vmcnt(1)
	ds_write2_b64 v22, v[0:1], v[4:5] offset1:90
	ds_write_b64 v22, v[2:3] offset:1440
	v_add_f32_e32 v0, v68, v65
	v_add_f32_e32 v1, v6, v68
	;; [unrolled: 1-line block ×3, first 2 shown]
	v_sub_f32_e32 v4, v64, v66
	v_sub_f32_e32 v5, v68, v65
	v_fma_f32 v6, -0.5, v0, v6
	v_add_f32_e32 v0, v1, v65
	v_add_f32_e32 v1, v2, v66
	;; [unrolled: 1-line block ×3, first 2 shown]
	v_fmac_f32_e32 v7, -0.5, v2
	v_fmamk_f32 v2, v4, 0xbf5db3d7, v6
	v_fmac_f32_e32 v6, 0x3f5db3d7, v4
	v_fmamk_f32 v3, v5, 0x3f5db3d7, v7
	v_fmac_f32_e32 v7, 0xbf5db3d7, v5
	s_waitcnt vmcnt(0)
	ds_write2_b64 v20, v[0:1], v[2:3] offset1:90
	v_add_f32_e32 v2, v67, v70
	v_add_f32_e32 v0, v8, v67
	ds_write_b64 v20, v[6:7] offset:1440
	v_sub_f32_e32 v6, v69, v71
	v_add_f32_e32 v3, v69, v71
	v_fma_f32 v2, -0.5, v2, v8
	buffer_load_dword v8, off, s[20:23], 0 offset:340 ; 4-byte Folded Reload
	v_add_f32_e32 v1, v9, v69
	v_sub_f32_e32 v7, v67, v70
	v_fma_f32 v3, -0.5, v3, v9
	v_fmamk_f32 v4, v6, 0xbf5db3d7, v2
	v_fmac_f32_e32 v2, 0x3f5db3d7, v6
	buffer_load_dword v6, off, s[20:23], 0 offset:336 ; 4-byte Folded Reload
	v_add_f32_e32 v0, v0, v70
	v_add_f32_e32 v1, v1, v71
	v_fmamk_f32 v5, v7, 0x3f5db3d7, v3
	v_fmac_f32_e32 v3, 0xbf5db3d7, v7
	v_sub_f32_e32 v7, v75, v78
	s_waitcnt vmcnt(1)
	ds_write2_b64 v8, v[0:1], v[4:5] offset1:90
	ds_write_b64 v8, v[2:3] offset:1440
	buffer_load_dword v8, off, s[20:23], 0 offset:332 ; 4-byte Folded Reload
	v_add_f32_e32 v0, v76, v73
	v_add_f32_e32 v1, v10, v76
	;; [unrolled: 1-line block ×3, first 2 shown]
	v_sub_f32_e32 v4, v72, v74
	v_sub_f32_e32 v5, v76, v73
	v_fma_f32 v10, -0.5, v0, v10
	v_add_f32_e32 v0, v1, v73
	v_add_f32_e32 v1, v2, v74
	;; [unrolled: 1-line block ×3, first 2 shown]
	v_fmac_f32_e32 v11, -0.5, v2
	v_fmamk_f32 v2, v4, 0xbf5db3d7, v10
	v_fmac_f32_e32 v10, 0x3f5db3d7, v4
	v_fmamk_f32 v3, v5, 0x3f5db3d7, v11
	v_fmac_f32_e32 v11, 0xbf5db3d7, v5
	s_waitcnt vmcnt(1)
	ds_write2_b64 v6, v[0:1], v[2:3] offset1:90
	v_add_f32_e32 v2, v75, v78
	ds_write_b64 v6, v[10:11] offset:1440
	v_sub_f32_e32 v6, v77, v79
	v_add_f32_e32 v3, v77, v79
	v_add_f32_e32 v0, v12, v75
	v_fma_f32 v2, -0.5, v2, v12
	v_add_f32_e32 v1, v13, v77
	v_fma_f32 v3, -0.5, v3, v13
	v_add_f32_e32 v0, v0, v78
	v_fmamk_f32 v4, v6, 0xbf5db3d7, v2
	v_fmac_f32_e32 v2, 0x3f5db3d7, v6
	buffer_load_dword v6, off, s[20:23], 0 offset:328 ; 4-byte Folded Reload
	v_add_f32_e32 v1, v1, v79
	v_fmamk_f32 v5, v7, 0x3f5db3d7, v3
	v_fmac_f32_e32 v3, 0xbf5db3d7, v7
	v_sub_f32_e32 v7, v83, v86
	s_waitcnt vmcnt(1)
	ds_write2_b64 v8, v[0:1], v[4:5] offset1:90
	ds_write_b64 v8, v[2:3] offset:1440
	buffer_load_dword v8, off, s[20:23], 0 offset:304 ; 4-byte Folded Reload
	v_add_f32_e32 v0, v84, v81
	v_add_f32_e32 v1, v14, v84
	;; [unrolled: 1-line block ×3, first 2 shown]
	v_sub_f32_e32 v4, v80, v82
	v_sub_f32_e32 v5, v84, v81
	v_fma_f32 v14, -0.5, v0, v14
	v_add_f32_e32 v0, v1, v81
	v_add_f32_e32 v1, v2, v82
	;; [unrolled: 1-line block ×3, first 2 shown]
	v_fmac_f32_e32 v15, -0.5, v2
	v_fmamk_f32 v2, v4, 0xbf5db3d7, v14
	v_fmac_f32_e32 v14, 0x3f5db3d7, v4
	v_fmamk_f32 v3, v5, 0x3f5db3d7, v15
	v_fmac_f32_e32 v15, 0xbf5db3d7, v5
	s_waitcnt vmcnt(1)
	ds_write2_b64 v6, v[0:1], v[2:3] offset1:90
	v_add_f32_e32 v2, v83, v86
	ds_write_b64 v6, v[14:15] offset:1440
	v_sub_f32_e32 v6, v85, v87
	v_add_f32_e32 v3, v85, v87
	v_add_f32_e32 v0, v16, v83
	v_fma_f32 v2, -0.5, v2, v16
	v_add_f32_e32 v1, v17, v85
	v_fma_f32 v3, -0.5, v3, v17
	v_add_f32_e32 v0, v0, v86
	v_fmamk_f32 v4, v6, 0xbf5db3d7, v2
	v_fmac_f32_e32 v2, 0x3f5db3d7, v6
	buffer_load_dword v6, off, s[20:23], 0 offset:296 ; 4-byte Folded Reload
	v_add_f32_e32 v1, v1, v87
	v_fmamk_f32 v5, v7, 0x3f5db3d7, v3
	v_fmac_f32_e32 v3, 0xbf5db3d7, v7
	s_waitcnt vmcnt(1)
	ds_write2_b64 v8, v[0:1], v[4:5] offset1:90
	v_add_f32_e32 v0, v92, v89
	ds_write_b64 v8, v[2:3] offset:1440
	v_add_f32_e32 v2, v18, v92
	v_add_f32_e32 v1, v19, v88
	v_sub_f32_e32 v4, v88, v90
	v_fma_f32 v18, -0.5, v0, v18
	v_add_f32_e32 v0, v88, v90
	v_sub_f32_e32 v5, v92, v89
	v_add_f32_e32 v1, v1, v90
	v_fmac_f32_e32 v19, -0.5, v0
	v_add_f32_e32 v0, v2, v89
	v_fmamk_f32 v2, v4, 0xbf5db3d7, v18
	v_fmac_f32_e32 v18, 0x3f5db3d7, v4
	v_fmamk_f32 v3, v5, 0x3f5db3d7, v19
	v_fmac_f32_e32 v19, 0xbf5db3d7, v5
	s_waitcnt vmcnt(0)
	ds_write2_b64 v6, v[0:1], v[2:3] offset0:112 offset1:202
	buffer_load_dword v0, off, s[20:23], 0 offset:292 ; 4-byte Folded Reload
	s_waitcnt vmcnt(0)
	ds_write_b64 v0, v[18:19] offset:18720
	s_waitcnt lgkmcnt(0)
	s_barrier
	buffer_gl0_inv
	ds_read2_b64 v[0:3], v213 offset0:42 offset1:123
	s_clause 0x3
	buffer_load_dword v6, off, s[20:23], 0 offset:356
	buffer_load_dword v7, off, s[20:23], 0 offset:360
	;; [unrolled: 1-line block ×4, first 2 shown]
	s_waitcnt lgkmcnt(0)
	v_mul_f32_e32 v59, v45, v3
	v_fmac_f32_e32 v59, v44, v2
	s_waitcnt vmcnt(2)
	v_mul_f32_e32 v23, v7, v1
	v_fmac_f32_e32 v23, v6, v0
	v_mul_f32_e32 v0, v7, v0
	v_fma_f32 v56, v6, v1, -v0
	ds_read2_b64 v[4:7], v27 offset0:84 offset1:165
	s_waitcnt vmcnt(0) lgkmcnt(0)
	v_mul_f32_e32 v0, v9, v4
	v_mul_f32_e32 v57, v9, v5
	v_fma_f32 v58, v8, v5, -v0
	v_mul_f32_e32 v0, v45, v2
	v_mul_f32_e32 v45, v47, v7
	v_fmac_f32_e32 v57, v8, v4
	v_fma_f32 v44, v44, v3, -v0
	v_mul_f32_e32 v0, v47, v6
	v_fmac_f32_e32 v45, v46, v6
	v_fma_f32 v46, v46, v7, -v0
	ds_read2_b64 v[0:3], v208 offset0:76 offset1:157
	ds_read2_b64 v[4:7], v25 offset0:118 offset1:199
	s_waitcnt lgkmcnt(1)
	v_mul_f32_e32 v47, v37, v1
	s_waitcnt lgkmcnt(0)
	v_mul_f32_e32 v61, v39, v5
	v_mul_f32_e32 v62, v53, v3
	v_fmac_f32_e32 v47, v36, v0
	v_mul_f32_e32 v0, v37, v0
	v_fmac_f32_e32 v62, v52, v2
	v_fmac_f32_e32 v61, v38, v4
	v_fma_f32 v60, v36, v1, -v0
	v_mul_f32_e32 v0, v39, v4
	v_fma_f32 v39, v38, v5, -v0
	v_mul_f32_e32 v0, v53, v2
	v_mul_f32_e32 v53, v55, v7
	v_fma_f32 v52, v52, v3, -v0
	v_mul_f32_e32 v0, v55, v6
	v_fmac_f32_e32 v53, v54, v6
	v_fma_f32 v54, v54, v7, -v0
	ds_read2_b64 v[0:3], v212 offset0:110 offset1:191
	s_clause 0x3
	buffer_load_dword v14, off, s[20:23], 0 offset:420
	buffer_load_dword v15, off, s[20:23], 0 offset:424
	;; [unrolled: 1-line block ×4, first 2 shown]
	ds_read2_b64 v[19:22], v168 offset0:92 offset1:173
	s_waitcnt lgkmcnt(1)
	v_mul_f32_e32 v55, v49, v3
	s_waitcnt lgkmcnt(0)
	v_mul_f32_e32 v4, v31, v19
	v_fmac_f32_e32 v55, v48, v2
	v_fma_f32 v4, v30, v20, -v4
	s_waitcnt vmcnt(2)
	v_mul_f32_e32 v6, v15, v1
	v_fmac_f32_e32 v6, v14, v0
	v_mul_f32_e32 v0, v15, v0
	v_fma_f32 v10, v14, v1, -v0
	ds_read2_b64 v[12:15], v206 offset0:152 offset1:233
	s_waitcnt vmcnt(0) lgkmcnt(0)
	v_mul_f32_e32 v11, v17, v13
	v_mul_f32_e32 v0, v17, v12
	v_fmac_f32_e32 v11, v16, v12
	v_fma_f32 v12, v16, v13, -v0
	v_mul_f32_e32 v0, v49, v2
	v_mul_f32_e32 v49, v51, v15
	v_fma_f32 v48, v48, v3, -v0
	v_mul_f32_e32 v0, v51, v14
	v_fmac_f32_e32 v49, v50, v14
	v_fma_f32 v50, v50, v15, -v0
	ds_read2_b64 v[0:3], v214 offset0:16 offset1:97
	ds_read2_b64 v[15:18], v26 offset0:58 offset1:139
	s_waitcnt lgkmcnt(1)
	v_mul_f32_e32 v14, v41, v1
	v_mul_f32_e32 v13, v33, v3
	v_fmac_f32_e32 v14, v40, v0
	v_mul_f32_e32 v0, v41, v0
	s_waitcnt lgkmcnt(0)
	v_mul_f32_e32 v41, v43, v16
	v_fmac_f32_e32 v13, v32, v2
	v_fma_f32 v40, v40, v1, -v0
	v_mul_f32_e32 v0, v43, v15
	v_fmac_f32_e32 v41, v42, v15
	v_mul_f32_e32 v1, v35, v17
	v_fma_f32 v42, v42, v16, -v0
	v_mul_f32_e32 v0, v33, v2
	v_fma_f32 v1, v34, v18, -v1
	v_fma_f32 v43, v32, v3, -v0
	v_mul_f32_e32 v0, v35, v18
	v_fmac_f32_e32 v0, v34, v17
	ds_read2_b64 v[15:18], v207 offset0:50 offset1:131
	s_clause 0x3
	buffer_load_dword v24, off, s[20:23], 0 offset:448
	buffer_load_dword v25, off, s[20:23], 0 offset:452
	;; [unrolled: 1-line block ×4, first 2 shown]
	s_waitcnt lgkmcnt(0)
	v_mul_f32_e32 v3, v29, v16
	v_mul_f32_e32 v2, v29, v15
	v_fmac_f32_e32 v3, v28, v15
	v_fma_f32 v5, v28, v16, -v2
	v_mul_f32_e32 v2, v31, v20
	v_add_f32_e32 v20, v56, v58
	v_fmac_f32_e32 v2, v30, v19
	s_waitcnt vmcnt(2)
	v_mul_f32_e32 v9, v25, v18
	v_mul_f32_e32 v7, v25, v17
	s_waitcnt vmcnt(0)
	v_mul_f32_e32 v8, v27, v21
	v_fmac_f32_e32 v9, v24, v17
	v_fma_f32 v51, v24, v18, -v7
	ds_read2_b64 v[15:18], v210 offset1:81
	v_mul_f32_e32 v7, v27, v22
	v_fma_f32 v8, v26, v22, -v8
	v_fmac_f32_e32 v7, v26, v21
	s_waitcnt lgkmcnt(0)
	v_add_f32_e32 v19, v16, v56
	v_sub_f32_e32 v56, v56, v58
	v_fma_f32 v16, -0.5, v20, v16
	v_add_f32_e32 v36, v19, v58
	v_add_f32_e32 v19, v15, v23
	;; [unrolled: 1-line block ×4, first 2 shown]
	v_sub_f32_e32 v57, v23, v57
	v_fma_f32 v15, -0.5, v19, v15
	ds_read2_b64 v[19:22], v210 offset0:162 offset1:243
	ds_read2_b64 v[23:26], v216 offset0:68 offset1:149
	;; [unrolled: 1-line block ×4, first 2 shown]
	v_fmamk_f32 v38, v57, 0x3f5db3d7, v16
	v_fmac_f32_e32 v16, 0xbf5db3d7, v57
	s_waitcnt lgkmcnt(0)
	v_fmamk_f32 v37, v56, 0xbf5db3d7, v15
	v_fmac_f32_e32 v15, 0x3f5db3d7, v56
	s_barrier
	buffer_gl0_inv
	ds_write_b64 v210, v[37:38] offset:2160
	ds_write_b64 v210, v[15:16] offset:4320
	v_add_f32_e32 v15, v17, v59
	v_add_f32_e32 v16, v18, v44
	;; [unrolled: 1-line block ×5, first 2 shown]
	ds_write2_b64 v210, v[35:36], v[15:16] offset1:81
	v_add_f32_e32 v15, v19, v47
	v_add_f32_e32 v16, v20, v60
	v_sub_f32_e32 v35, v59, v45
	v_sub_f32_e32 v36, v60, v39
	v_fma_f32 v19, -0.5, v37, v19
	v_add_f32_e32 v15, v15, v61
	v_add_f32_e32 v16, v16, v39
	v_sub_f32_e32 v37, v47, v61
	ds_write_b64 v210, v[15:16] offset:1296
	v_add_f32_e32 v15, v59, v45
	v_sub_f32_e32 v16, v44, v46
	v_fma_f32 v17, -0.5, v15, v17
	v_add_f32_e32 v15, v44, v46
	v_fmac_f32_e32 v18, -0.5, v15
	v_fmamk_f32 v15, v16, 0xbf5db3d7, v17
	v_fmac_f32_e32 v17, 0x3f5db3d7, v16
	v_add_f32_e32 v16, v60, v39
	v_fma_f32 v20, -0.5, v16, v20
	v_fmamk_f32 v16, v35, 0x3f5db3d7, v18
	v_fmac_f32_e32 v18, 0xbf5db3d7, v35
	v_fmamk_f32 v35, v36, 0xbf5db3d7, v19
	v_fmac_f32_e32 v19, 0x3f5db3d7, v36
	v_fmamk_f32 v36, v37, 0x3f5db3d7, v20
	v_fmac_f32_e32 v20, 0xbf5db3d7, v37
	ds_write2_b64 v215, v[17:18], v[19:20] offset0:109 offset1:190
	ds_write2_b64 v216, v[15:16], v[35:36] offset0:95 offset1:176
	v_add_f32_e32 v15, v62, v53
	v_add_f32_e32 v17, v21, v62
	;; [unrolled: 1-line block ×3, first 2 shown]
	v_sub_f32_e32 v16, v52, v54
	v_sub_f32_e32 v19, v62, v53
	v_fma_f32 v21, -0.5, v15, v21
	v_add_f32_e32 v15, v52, v54
	v_add_f32_e32 v17, v17, v53
	;; [unrolled: 1-line block ×3, first 2 shown]
	v_sub_f32_e32 v20, v48, v50
	v_sub_f32_e32 v35, v55, v49
	v_fmac_f32_e32 v22, -0.5, v15
	v_fmamk_f32 v15, v16, 0xbf5db3d7, v21
	v_fmac_f32_e32 v21, 0x3f5db3d7, v16
	v_fmamk_f32 v16, v19, 0x3f5db3d7, v22
	v_fmac_f32_e32 v22, 0xbf5db3d7, v19
	buffer_load_dword v19, off, s[20:23], 0 offset:264 ; 4-byte Folded Reload
	s_waitcnt vmcnt(0)
	ds_write_b64 v19, v[21:22] offset:4320
	ds_write_b64 v19, v[17:18]
	ds_write_b64 v19, v[15:16] offset:2160
	v_add_f32_e32 v15, v6, v11
	v_sub_f32_e32 v16, v10, v12
	v_add_f32_e32 v18, v55, v49
	v_add_f32_e32 v21, v25, v55
	;; [unrolled: 1-line block ×3, first 2 shown]
	v_fma_f32 v15, -0.5, v15, v23
	v_sub_f32_e32 v19, v6, v11
	v_fma_f32 v25, -0.5, v18, v25
	v_add_f32_e32 v18, v48, v50
	v_add_f32_e32 v6, v23, v6
	v_fmamk_f32 v17, v16, 0xbf5db3d7, v15
	v_fmac_f32_e32 v15, 0x3f5db3d7, v16
	v_add_f32_e32 v16, v10, v12
	v_fmac_f32_e32 v26, -0.5, v18
	v_fma_f32 v16, -0.5, v16, v24
	v_fmamk_f32 v18, v19, 0x3f5db3d7, v16
	v_fmac_f32_e32 v16, 0xbf5db3d7, v19
	v_fmamk_f32 v19, v20, 0xbf5db3d7, v25
	v_fmac_f32_e32 v25, 0x3f5db3d7, v20
	v_fmamk_f32 v20, v35, 0x3f5db3d7, v26
	v_fmac_f32_e32 v26, 0xbf5db3d7, v35
	ds_write2_b64 v214, v[15:16], v[25:26] offset0:124 offset1:205
	v_add_f32_e32 v15, v24, v10
	v_add_f32_e32 v10, v6, v11
	;; [unrolled: 1-line block ×6, first 2 shown]
	ds_write2_b64 v213, v[10:11], v[15:16] offset0:96 offset1:177
	ds_write2_b64 v212, v[17:18], v[19:20] offset0:110 offset1:191
	s_clause 0x2
	buffer_load_dword v16, off, s[20:23], 0 offset:272
	buffer_load_dword v20, off, s[20:23], 0 offset:300
	;; [unrolled: 1-line block ×3, first 2 shown]
	v_add_f32_e32 v11, v28, v40
	v_add_f32_e32 v10, v6, v41
	;; [unrolled: 1-line block ×3, first 2 shown]
	v_sub_f32_e32 v12, v40, v42
	v_add_f32_e32 v17, v30, v43
	v_add_f32_e32 v11, v11, v42
	;; [unrolled: 1-line block ×4, first 2 shown]
	s_waitcnt vmcnt(2)
	ds_write_b64 v16, v[10:11]
	v_add_f32_e32 v10, v14, v41
	v_fma_f32 v11, -0.5, v6, v28
	v_sub_f32_e32 v6, v14, v41
	v_fma_f32 v10, -0.5, v10, v27
	v_fmamk_f32 v15, v6, 0x3f5db3d7, v11
	v_fmac_f32_e32 v11, 0xbf5db3d7, v6
	v_add_f32_e32 v6, v13, v0
	v_fmamk_f32 v14, v12, 0xbf5db3d7, v10
	v_fmac_f32_e32 v10, 0x3f5db3d7, v12
	ds_write_b64 v16, v[14:15] offset:2160
	ds_write_b64 v16, v[10:11] offset:4320
	v_add_f32_e32 v16, v29, v13
	v_fma_f32 v29, -0.5, v6, v29
	v_add_f32_e32 v6, v43, v1
	v_fmac_f32_e32 v30, -0.5, v6
	v_sub_f32_e32 v6, v43, v1
	v_add_f32_e32 v1, v17, v1
	v_fmamk_f32 v10, v6, 0xbf5db3d7, v29
	v_fmac_f32_e32 v29, 0x3f5db3d7, v6
	v_sub_f32_e32 v6, v13, v0
	v_add_f32_e32 v13, v5, v4
	v_add_f32_e32 v0, v16, v0
	v_fmamk_f32 v11, v6, 0x3f5db3d7, v30
	v_fmac_f32_e32 v30, 0xbf5db3d7, v6
	v_add_f32_e32 v6, v3, v2
	v_fma_f32 v13, -0.5, v13, v32
	s_waitcnt vmcnt(0)
	ds_write_b64 v21, v[29:30] offset:17280
	v_fma_f32 v12, -0.5, v6, v31
	v_sub_f32_e32 v6, v5, v4
	v_add_f32_e32 v5, v32, v5
	v_fmamk_f32 v14, v6, 0xbf5db3d7, v12
	v_fmac_f32_e32 v12, 0x3f5db3d7, v6
	v_sub_f32_e32 v6, v3, v2
	v_add_f32_e32 v3, v31, v3
	v_fmamk_f32 v15, v6, 0x3f5db3d7, v13
	v_fmac_f32_e32 v13, 0xbf5db3d7, v6
	v_add_f32_e32 v6, v9, v7
	ds_write_b64 v20, v[12:13] offset:17280
	v_fma_f32 v33, -0.5, v6, v33
	v_add_f32_e32 v6, v51, v8
	v_fmac_f32_e32 v34, -0.5, v6
	v_sub_f32_e32 v6, v51, v8
	v_fmamk_f32 v12, v6, 0xbf5db3d7, v33
	v_fmac_f32_e32 v33, 0x3f5db3d7, v6
	v_sub_f32_e32 v6, v9, v7
	buffer_load_dword v9, off, s[20:23], 0 offset:268 ; 4-byte Folded Reload
	v_fmamk_f32 v13, v6, 0x3f5db3d7, v34
	v_fmac_f32_e32 v34, 0xbf5db3d7, v6
	s_waitcnt vmcnt(0)
	ds_write_b64 v9, v[33:34] offset:17280
	ds_write_b64 v21, v[0:1] offset:12960
	;; [unrolled: 1-line block ×3, first 2 shown]
	v_add_f32_e32 v0, v3, v2
	v_add_f32_e32 v1, v5, v4
	ds_write_b64 v20, v[0:1] offset:12960
	ds_write_b64 v20, v[14:15] offset:15120
	v_add_f32_e32 v0, v18, v7
	v_add_f32_e32 v1, v19, v8
	ds_write_b64 v9, v[0:1] offset:12960
	ds_write_b64 v9, v[12:13] offset:15120
	s_waitcnt lgkmcnt(0)
	s_barrier
	buffer_gl0_inv
	ds_read2_b64 v[0:3], v213 offset0:42 offset1:123
	s_clause 0x3
	buffer_load_dword v6, off, s[20:23], 0 offset:308
	buffer_load_dword v7, off, s[20:23], 0 offset:312
	;; [unrolled: 1-line block ×4, first 2 shown]
	s_waitcnt vmcnt(2) lgkmcnt(0)
	v_mul_f32_e32 v18, v7, v1
	v_fmac_f32_e32 v18, v6, v0
	v_mul_f32_e32 v0, v7, v0
	v_fma_f32 v19, v6, v1, -v0
	ds_read2_b64 v[4:7], v171 offset0:84 offset1:165
	s_waitcnt vmcnt(0) lgkmcnt(0)
	v_mul_f32_e32 v20, v9, v5
	v_mul_f32_e32 v0, v9, v4
	v_fmac_f32_e32 v20, v8, v4
	v_fma_f32 v21, v8, v5, -v0
	s_clause 0x3
	buffer_load_dword v8, off, s[20:23], 0 offset:276
	buffer_load_dword v9, off, s[20:23], 0 offset:280
	;; [unrolled: 1-line block ×4, first 2 shown]
	ds_read2_b64 v[14:17], v168 offset0:92 offset1:173
	v_sub_f32_e32 v61, v18, v20
	v_sub_f32_e32 v60, v19, v21
	s_waitcnt vmcnt(2)
	v_mul_f32_e32 v0, v9, v2
	v_mul_f32_e32 v35, v9, v3
	s_waitcnt vmcnt(0)
	v_mul_f32_e32 v37, v11, v7
	v_fma_f32 v36, v8, v3, -v0
	v_mul_f32_e32 v0, v11, v6
	v_fmac_f32_e32 v35, v8, v2
	v_fmac_f32_e32 v37, v10, v6
	v_fma_f32 v38, v10, v7, -v0
	ds_read2_b64 v[0:3], v208 offset0:76 offset1:157
	ds_read2_b64 v[4:7], v169 offset0:118 offset1:199
	;; [unrolled: 1-line block ×3, first 2 shown]
	s_waitcnt lgkmcnt(2)
	v_mul_f32_e32 v39, v117, v1
	v_mul_f32_e32 v43, v105, v3
	s_waitcnt lgkmcnt(1)
	v_mul_f32_e32 v41, v119, v5
	v_mul_f32_e32 v45, v107, v7
	s_waitcnt lgkmcnt(0)
	v_mul_f32_e32 v8, v163, v10
	v_fmac_f32_e32 v39, v116, v0
	v_mul_f32_e32 v0, v117, v0
	v_fmac_f32_e32 v43, v104, v2
	;; [unrolled: 2-line block ×3, first 2 shown]
	v_fmac_f32_e32 v41, v118, v4
	v_fma_f32 v40, v116, v1, -v0
	v_mul_f32_e32 v0, v119, v4
	v_fmac_f32_e32 v50, v146, v11
	v_fmac_f32_e32 v45, v106, v6
	v_fma_f32 v42, v118, v5, -v0
	v_mul_f32_e32 v0, v105, v2
	v_fma_f32 v44, v104, v3, -v0
	v_mul_f32_e32 v0, v107, v6
	v_mul_f32_e32 v6, v151, v16
	v_fma_f32 v46, v106, v7, -v0
	ds_read2_b64 v[0:3], v212 offset0:110 offset1:191
	v_fma_f32 v6, v150, v17, -v6
	s_waitcnt lgkmcnt(0)
	v_mul_f32_e32 v5, v161, v1
	v_mul_f32_e32 v48, v145, v3
	v_fmac_f32_e32 v5, v160, v0
	v_mul_f32_e32 v0, v161, v0
	v_fmac_f32_e32 v48, v144, v2
	v_fma_f32 v7, v160, v1, -v0
	v_mul_f32_e32 v0, v163, v9
	v_fma_f32 v47, v162, v10, -v0
	v_mul_f32_e32 v0, v145, v2
	;; [unrolled: 2-line block ×3, first 2 shown]
	v_fma_f32 v51, v146, v12, -v0
	ds_read2_b64 v[0:3], v214 offset0:16 offset1:97
	ds_read2_b64 v[9:12], v170 offset0:58 offset1:139
	s_waitcnt lgkmcnt(1)
	v_mul_f32_e32 v52, v165, v1
	s_waitcnt lgkmcnt(0)
	v_mul_f32_e32 v57, v155, v12
	v_mul_f32_e32 v54, v167, v10
	v_fmac_f32_e32 v52, v164, v0
	v_mul_f32_e32 v0, v165, v0
	v_fmac_f32_e32 v57, v154, v11
	v_fmac_f32_e32 v54, v166, v9
	v_fma_f32 v53, v164, v1, -v0
	v_mul_f32_e32 v0, v167, v9
	v_mul_f32_e32 v9, v153, v3
	v_fma_f32 v55, v166, v10, -v0
	v_mul_f32_e32 v0, v153, v2
	v_fmac_f32_e32 v9, v152, v2
	v_fma_f32 v56, v152, v3, -v0
	v_mul_f32_e32 v0, v155, v11
	v_mul_f32_e32 v3, v159, v14
	v_fma_f32 v58, v154, v12, -v0
	ds_read2_b64 v[10:13], v207 offset0:50 offset1:131
	v_fma_f32 v3, v158, v15, -v3
	s_waitcnt lgkmcnt(0)
	v_mul_f32_e32 v0, v157, v11
	v_mul_f32_e32 v1, v157, v10
	;; [unrolled: 1-line block ×3, first 2 shown]
	v_fmac_f32_e32 v0, v156, v10
	v_fma_f32 v2, v156, v11, -v1
	v_mul_f32_e32 v1, v159, v15
	v_mul_f32_e32 v10, v149, v13
	v_fma_f32 v59, v148, v13, -v4
	v_mul_f32_e32 v4, v151, v17
	v_fmac_f32_e32 v1, v158, v14
	v_fmac_f32_e32 v10, v148, v12
	ds_read2_b64 v[11:14], v210 offset1:81
	v_fmac_f32_e32 v4, v150, v16
	v_add_f32_e32 v16, v19, v21
	s_waitcnt lgkmcnt(0)
	v_add_f32_e32 v15, v12, v19
	v_fma_f32 v12, -0.5, v16, v12
	v_add_f32_e32 v32, v15, v21
	v_add_f32_e32 v15, v11, v18
	v_fmamk_f32 v34, v61, 0x3f5db3d7, v12
	v_fmac_f32_e32 v12, 0xbf5db3d7, v61
	v_add_f32_e32 v31, v15, v20
	v_add_f32_e32 v15, v18, v20
	v_fma_f32 v11, -0.5, v15, v11
	ds_read2_b64 v[15:18], v210 offset0:162 offset1:243
	ds_read2_b64 v[19:22], v216 offset0:68 offset1:149
	;; [unrolled: 1-line block ×4, first 2 shown]
	v_fmamk_f32 v33, v60, 0xbf5db3d7, v11
	v_fmac_f32_e32 v11, 0x3f5db3d7, v60
	ds_write_b64 v210, v[33:34] offset:6480
	ds_write_b64 v210, v[11:12] offset:12960
	v_add_f32_e32 v11, v13, v35
	v_add_f32_e32 v12, v14, v36
	v_sub_f32_e32 v34, v40, v42
	v_add_f32_e32 v11, v11, v37
	v_add_f32_e32 v12, v12, v38
	ds_write2_b64 v210, v[31:32], v[11:12] offset1:81
	v_add_f32_e32 v11, v35, v37
	v_sub_f32_e32 v12, v36, v38
	v_sub_f32_e32 v31, v35, v37
	v_add_f32_e32 v32, v40, v42
	v_sub_f32_e32 v35, v39, v41
	v_fma_f32 v13, -0.5, v11, v13
	v_add_f32_e32 v11, v36, v38
	s_waitcnt lgkmcnt(6)
	v_fma_f32 v32, -0.5, v32, v16
	v_fmac_f32_e32 v14, -0.5, v11
	v_fmamk_f32 v11, v12, 0xbf5db3d7, v13
	v_fmac_f32_e32 v13, 0x3f5db3d7, v12
	v_fmamk_f32 v12, v31, 0x3f5db3d7, v14
	v_fmac_f32_e32 v14, 0xbf5db3d7, v31
	v_add_f32_e32 v31, v39, v41
	v_fma_f32 v31, -0.5, v31, v15
	v_fmamk_f32 v33, v34, 0xbf5db3d7, v31
	v_fmac_f32_e32 v31, 0x3f5db3d7, v34
	v_fmamk_f32 v34, v35, 0x3f5db3d7, v32
	v_fmac_f32_e32 v32, 0xbf5db3d7, v35
	ds_write2_b64 v171, v[13:14], v[31:32] offset0:165 offset1:246
	ds_write2_b64 v213, v[11:12], v[33:34] offset0:123 offset1:204
	v_add_f32_e32 v11, v15, v39
	v_add_f32_e32 v12, v16, v40
	;; [unrolled: 1-line block ×9, first 2 shown]
	v_sub_f32_e32 v16, v7, v47
	v_sub_f32_e32 v31, v5, v8
	s_waitcnt lgkmcnt(7)
	v_add_f32_e32 v32, v22, v49
	v_sub_f32_e32 v33, v48, v50
	ds_write2_b64 v210, v[11:12], v[13:14] offset0:162 offset1:243
	v_add_f32_e32 v11, v43, v45
	v_sub_f32_e32 v12, v44, v46
	v_sub_f32_e32 v13, v43, v45
	v_add_f32_e32 v14, v5, v8
	v_add_f32_e32 v5, v19, v5
	v_fma_f32 v17, -0.5, v11, v17
	v_add_f32_e32 v11, v44, v46
	v_add_f32_e32 v32, v32, v51
	v_fmac_f32_e32 v18, -0.5, v11
	v_fmamk_f32 v11, v12, 0xbf5db3d7, v17
	v_fmac_f32_e32 v17, 0x3f5db3d7, v12
	v_fmamk_f32 v12, v13, 0x3f5db3d7, v18
	v_fmac_f32_e32 v18, 0xbf5db3d7, v13
	v_fma_f32 v13, -0.5, v14, v19
	v_fma_f32 v14, -0.5, v15, v20
	v_add_f32_e32 v19, v20, v7
	v_sub_f32_e32 v20, v53, v55
	v_add_f32_e32 v7, v5, v8
	v_fmamk_f32 v15, v16, 0xbf5db3d7, v13
	v_fmac_f32_e32 v13, 0x3f5db3d7, v16
	v_fmamk_f32 v16, v31, 0x3f5db3d7, v14
	v_fmac_f32_e32 v14, 0xbf5db3d7, v31
	v_add_f32_e32 v31, v21, v48
	v_sub_f32_e32 v5, v52, v54
	v_add_f32_e32 v8, v19, v47
	ds_write2_b64 v212, v[11:12], v[15:16] offset0:29 offset1:110
	buffer_load_dword v11, off, s[20:23], 0 offset:516 ; 4-byte Folded Reload
	ds_write2_b64 v206, v[17:18], v[13:14] offset0:71 offset1:152
	v_add_f32_e32 v13, v48, v50
	v_add_f32_e32 v14, v52, v54
	;; [unrolled: 1-line block ×3, first 2 shown]
	v_sub_f32_e32 v18, v49, v51
	v_add_f32_e32 v31, v31, v50
	v_fma_f32 v21, -0.5, v13, v21
	v_add_f32_e32 v13, v49, v51
	s_waitcnt lgkmcnt(9)
	v_add_f32_e32 v12, v26, v56
	v_add_f32_e32 v16, v2, v3
	v_fmac_f32_e32 v22, -0.5, v13
	v_fma_f32 v13, -0.5, v14, v23
	v_fma_f32 v14, -0.5, v17, v24
	v_fmamk_f32 v17, v18, 0xbf5db3d7, v21
	v_fmac_f32_e32 v21, 0x3f5db3d7, v18
	v_fmamk_f32 v18, v33, 0x3f5db3d7, v22
	v_fmamk_f32 v19, v20, 0xbf5db3d7, v13
	v_fmac_f32_e32 v13, 0x3f5db3d7, v20
	v_fmamk_f32 v20, v5, 0x3f5db3d7, v14
	v_fmac_f32_e32 v22, 0xbf5db3d7, v33
	v_fmac_f32_e32 v14, 0xbf5db3d7, v5
	v_add_f32_e32 v5, v23, v52
	s_waitcnt lgkmcnt(8)
	v_fma_f32 v16, -0.5, v16, v28
	v_add_f32_e32 v12, v12, v58
	s_waitcnt vmcnt(0)
	ds_write2_b64 v11, v[17:18], v[19:20] offset0:63 offset1:144
	buffer_load_dword v11, off, s[20:23], 0 offset:520 ; 4-byte Folded Reload
	s_waitcnt vmcnt(0)
	ds_write2_b64 v11, v[21:22], v[13:14] offset0:105 offset1:186
	ds_write2_b64 v216, v[7:8], v[31:32] offset0:68 offset1:149
	v_add_f32_e32 v7, v5, v54
	v_add_f32_e32 v5, v25, v9
	;; [unrolled: 1-line block ×4, first 2 shown]
	v_sub_f32_e32 v9, v9, v57
	v_sub_f32_e32 v19, v0, v1
	v_add_f32_e32 v11, v5, v57
	v_fma_f32 v25, -0.5, v13, v25
	v_sub_f32_e32 v5, v56, v58
	v_fmac_f32_e32 v26, -0.5, v14
	v_add_f32_e32 v14, v0, v1
	v_add_f32_e32 v20, v59, v6
	;; [unrolled: 1-line block ×3, first 2 shown]
	v_fmamk_f32 v13, v5, 0xbf5db3d7, v25
	v_fmac_f32_e32 v25, 0x3f5db3d7, v5
	v_fma_f32 v15, -0.5, v14, v27
	v_sub_f32_e32 v5, v2, v3
	v_fmamk_f32 v14, v9, 0x3f5db3d7, v26
	v_fmac_f32_e32 v26, 0xbf5db3d7, v9
	v_add_f32_e32 v9, v10, v4
	v_fmamk_f32 v18, v19, 0x3f5db3d7, v16
	v_fmamk_f32 v17, v5, 0xbf5db3d7, v15
	v_fmac_f32_e32 v15, 0x3f5db3d7, v5
	v_add_f32_e32 v5, v29, v10
	v_fma_f32 v29, -0.5, v9, v29
	v_sub_f32_e32 v21, v59, v6
	v_fmac_f32_e32 v16, 0xbf5db3d7, v19
	v_add_f32_e32 v19, v30, v59
	v_fmac_f32_e32 v30, -0.5, v20
	v_sub_f32_e32 v20, v10, v4
	v_add_f32_e32 v0, v27, v0
	v_add_f32_e32 v2, v28, v2
	;; [unrolled: 1-line block ×3, first 2 shown]
	v_fmamk_f32 v9, v21, 0xbf5db3d7, v29
	v_fmac_f32_e32 v29, 0x3f5db3d7, v21
	v_fmamk_f32 v10, v20, 0x3f5db3d7, v30
	v_fmac_f32_e32 v30, 0xbf5db3d7, v20
	v_add_f32_e32 v0, v0, v1
	v_add_f32_e32 v1, v2, v3
	;; [unrolled: 1-line block ×4, first 2 shown]
	ds_write2_b64 v211, v[7:8], v[11:12] offset0:102 offset1:183
	ds_write_b64 v210, v[25:26] offset:17496
	ds_write2_b64 v214, v[13:14], v[17:18] offset0:97 offset1:178
	ds_write2_b64 v168, v[15:16], v[29:30] offset0:92 offset1:173
	;; [unrolled: 1-line block ×3, first 2 shown]
	ds_write_b64 v210, v[9:10] offset:12312
	s_waitcnt lgkmcnt(0)
	s_barrier
	buffer_gl0_inv
	ds_read2_b64 v[0:3], v210 offset1:81
	ds_read2_b64 v[4:7], v211 offset0:102 offset1:183
	s_clause 0x1
	buffer_load_dword v12, off, s[20:23], 0 offset:240
	buffer_load_dword v13, off, s[20:23], 0 offset:244
	ds_read2_b64 v[8:11], v208 offset0:76 offset1:157
	s_waitcnt vmcnt(0) lgkmcnt(2)
	v_mul_f32_e32 v24, v13, v1
	v_mul_f32_e32 v16, v13, v0
	v_mov_b32_e32 v19, v12
	v_fmac_f32_e32 v24, v12, v0
	s_clause 0x3
	buffer_load_dword v12, off, s[20:23], 0 offset:232
	buffer_load_dword v13, off, s[20:23], 0 offset:236
	;; [unrolled: 1-line block ×4, first 2 shown]
	v_fma_f32 v25, v19, v1, -v16
	s_waitcnt vmcnt(2)
	v_mul_f32_e32 v0, v13, v3
	v_mul_f32_e32 v17, v13, v2
	v_mov_b32_e32 v22, v12
	s_waitcnt vmcnt(0) lgkmcnt(1)
	v_mul_f32_e32 v26, v21, v5
	v_mul_f32_e32 v18, v21, v4
	ds_read2_b64 v[12:15], v207 offset0:50 offset1:131
	v_fmac_f32_e32 v0, v22, v2
	v_fma_f32 v2, v22, v3, -v17
	v_fmac_f32_e32 v26, v20, v4
	v_fma_f32 v27, v20, v5, -v18
	s_clause 0x1
	buffer_load_dword v3, off, s[20:23], 0 offset:224
	buffer_load_dword v4, off, s[20:23], 0 offset:228
	ds_read2_b64 v[16:19], v206 offset0:152 offset1:233
	s_clause 0x3
	buffer_load_dword v22, off, s[20:23], 0 offset:200
	buffer_load_dword v23, off, s[20:23], 0 offset:204
	;; [unrolled: 1-line block ×4, first 2 shown]
	s_waitcnt vmcnt(4)
	v_mul_f32_e32 v1, v4, v7
	v_mul_f32_e32 v4, v4, v6
	v_mov_b32_e32 v28, v3
	s_waitcnt vmcnt(2) lgkmcnt(2)
	v_mul_f32_e32 v32, v23, v9
	v_mul_f32_e32 v5, v23, v8
	s_waitcnt vmcnt(0)
	v_mul_f32_e32 v3, v21, v11
	v_fmac_f32_e32 v1, v28, v6
	v_fma_f32 v46, v28, v7, -v4
	v_fmac_f32_e32 v32, v22, v8
	v_fma_f32 v33, v22, v9, -v5
	v_fmac_f32_e32 v3, v20, v10
	v_mul_f32_e32 v8, v21, v10
	v_mov_b32_e32 v28, v20
	ds_read2_b64 v[4:7], v210 offset0:162 offset1:243
	s_clause 0x3
	buffer_load_dword v20, off, s[20:23], 0 offset:184
	buffer_load_dword v21, off, s[20:23], 0 offset:188
	;; [unrolled: 1-line block ×4, first 2 shown]
	v_fma_f32 v48, v28, v11, -v8
	s_waitcnt vmcnt(2) lgkmcnt(2)
	v_mul_f32_e32 v9, v21, v12
	v_mov_b32_e32 v10, v20
	v_mul_f32_e32 v34, v21, v13
	s_waitcnt vmcnt(0)
	v_mul_f32_e32 v47, v30, v15
	ds_read2_b64 v[20:23], v216 offset0:68 offset1:149
	v_fma_f32 v36, v10, v13, -v9
	v_mov_b32_e32 v8, v29
	v_mov_b32_e32 v9, v30
	v_fmac_f32_e32 v34, v10, v12
	v_fmac_f32_e32 v47, v8, v14
	v_mul_f32_e32 v12, v9, v14
	s_clause 0x3
	buffer_load_dword v8, off, s[20:23], 0 offset:144
	buffer_load_dword v9, off, s[20:23], 0 offset:148
	;; [unrolled: 1-line block ×4, first 2 shown]
	v_fma_f32 v50, v29, v15, -v12
	s_waitcnt vmcnt(2) lgkmcnt(2)
	v_mul_f32_e32 v38, v9, v17
	v_mul_f32_e32 v13, v9, v16
	v_mov_b32_e32 v28, v8
	s_waitcnt vmcnt(0)
	v_mul_f32_e32 v49, v31, v19
	ds_read2_b64 v[8:11], v215 offset0:136 offset1:217
	v_mul_f32_e32 v14, v31, v18
	v_fmac_f32_e32 v38, v28, v16
	v_fma_f32 v39, v28, v17, -v13
	v_fmac_f32_e32 v49, v30, v18
	s_clause 0x3
	buffer_load_dword v17, off, s[20:23], 0 offset:120
	buffer_load_dword v18, off, s[20:23], 0 offset:124
	;; [unrolled: 1-line block ×4, first 2 shown]
	v_fma_f32 v51, v30, v19, -v14
	s_clause 0x1
	buffer_load_dword v14, off, s[20:23], 0 offset:152
	buffer_load_dword v15, off, s[20:23], 0 offset:156
	s_waitcnt vmcnt(4) lgkmcnt(2)
	v_mul_f32_e32 v16, v18, v7
	s_waitcnt vmcnt(2)
	v_mul_f32_e32 v54, v29, v5
	v_mul_f32_e32 v13, v29, v4
	;; [unrolled: 1-line block ×3, first 2 shown]
	s_waitcnt vmcnt(0) lgkmcnt(1)
	v_mul_f32_e32 v52, v15, v21
	v_fmac_f32_e32 v16, v17, v6
	v_fmac_f32_e32 v54, v28, v4
	v_fma_f32 v55, v28, v5, -v13
	s_clause 0x1
	buffer_load_dword v4, off, s[20:23], 0 offset:160
	buffer_load_dword v5, off, s[20:23], 0 offset:164
	v_fma_f32 v18, v17, v7, -v12
	s_clause 0x1
	buffer_load_dword v30, off, s[20:23], 0 offset:128
	buffer_load_dword v31, off, s[20:23], 0 offset:132
	v_cvt_f64_f32_e32 v[6:7], v25
	v_cvt_f64_f32_e32 v[16:17], v16
	v_fmac_f32_e32 v52, v14, v20
	v_mul_f32_e32 v20, v15, v20
	v_mov_b32_e32 v35, v14
	v_cvt_f64_f32_e32 v[18:19], v18
	v_fma_f32 v53, v35, v21, -v20
	s_waitcnt vmcnt(2)
	v_mul_f32_e32 v56, v5, v23
	v_mul_f32_e32 v28, v5, v22
	v_mov_b32_e32 v37, v4
	v_cvt_f64_f32_e32 v[4:5], v24
	s_clause 0x2
	buffer_load_dword v24, off, s[20:23], 0
	buffer_load_dword v25, off, s[20:23], 0 offset:4
	buffer_load_dword v25, off, s[20:23], 0 offset:248
	s_waitcnt vmcnt(3)
	v_mov_b32_e32 v20, v30
	s_waitcnt lgkmcnt(0)
	v_mul_f32_e32 v29, v31, v11
	v_mov_b32_e32 v21, v31
	v_fma_f32 v57, v37, v23, -v28
	v_fmac_f32_e32 v56, v37, v22
	v_mov_b32_e32 v28, v20
	v_fmac_f32_e32 v29, v20, v10
	v_mul_f32_e32 v10, v21, v10
	v_fma_f32 v28, v28, v11, -v10
	s_waitcnt vmcnt(2)
	v_mad_u64_u32 v[12:13], null, s2, v24, 0
	s_waitcnt vmcnt(0)
	v_mad_u64_u32 v[14:15], null, s0, v25, 0
	v_mad_u64_u32 v[20:21], null, s3, v24, v[13:14]
	s_mov_b32 s2, 0x40e53dbc
	s_mov_b32 s3, 0x3f3af834
	v_mad_u64_u32 v[21:22], null, s1, v25, v[15:16]
	v_mul_f64 v[22:23], v[4:5], s[2:3]
	s_clause 0x1
	buffer_load_dword v4, off, s[20:23], 0 offset:136
	buffer_load_dword v5, off, s[20:23], 0 offset:140
	v_mul_f64 v[24:25], v[6:7], s[2:3]
	v_mov_b32_e32 v13, v20
	v_mul_f64 v[10:11], v[16:17], s[2:3]
	v_mul_f64 v[16:17], v[18:19], s[2:3]
	v_mov_b32_e32 v15, v21
	v_cvt_f64_f32_e32 v[18:19], v26
	v_lshlrev_b64 v[12:13], 3, v[12:13]
	v_cvt_f64_f32_e32 v[20:21], v27
	v_cvt_f64_f32_e32 v[26:27], v29
	;; [unrolled: 1-line block ×3, first 2 shown]
	v_add_co_u32 v12, vcc_lo, s4, v12
	v_add_co_ci_u32_e32 v13, vcc_lo, s5, v13, vcc_lo
	s_mul_i32 s4, s1, 0x798
	s_mul_hi_u32 s5, s0, 0x798
	s_mulk_i32 s1, 0xbe30
	s_add_i32 s4, s5, s4
	v_cvt_f32_f64_e32 v22, v[22:23]
	s_mul_i32 s5, s0, 0x798
	v_cvt_f32_f64_e32 v23, v[24:25]
	s_sub_i32 s1, s1, s0
	s_waitcnt vmcnt(0)
	v_mul_f32_e32 v58, v5, v9
	v_mul_f32_e32 v30, v5, v8
	v_mov_b32_e32 v31, v4
	ds_read2_b64 v[4:7], v212 offset0:110 offset1:191
	v_fmac_f32_e32 v58, v31, v8
	v_fma_f32 v59, v31, v9, -v30
	v_lshlrev_b64 v[8:9], 3, v[14:15]
	v_cvt_f32_f64_e32 v30, v[10:11]
	v_cvt_f32_f64_e32 v31, v[16:17]
	v_mul_f64 v[16:17], v[18:19], s[2:3]
	v_mul_f64 v[18:19], v[20:21], s[2:3]
	;; [unrolled: 1-line block ×3, first 2 shown]
	v_add_co_u32 v24, vcc_lo, v12, v8
	v_add_co_ci_u32_e32 v25, vcc_lo, v13, v9, vcc_lo
	s_clause 0x1
	buffer_load_dword v8, off, s[20:23], 0 offset:112
	buffer_load_dword v9, off, s[20:23], 0 offset:116
	ds_read2_b64 v[12:15], v170 offset0:58 offset1:139
	v_mul_f64 v[26:27], v[28:29], s[2:3]
	global_store_dwordx2 v[24:25], v[22:23], off
	v_cvt_f64_f32_e32 v[28:29], v32
	v_cvt_f64_f32_e32 v[32:33], v33
	v_add_co_u32 v24, vcc_lo, v24, s5
	v_add_co_ci_u32_e32 v25, vcc_lo, s4, v25, vcc_lo
	v_cvt_f32_f64_e32 v16, v[16:17]
	v_cvt_f32_f64_e32 v17, v[18:19]
	;; [unrolled: 1-line block ×4, first 2 shown]
	v_mul_f64 v[20:21], v[28:29], s[2:3]
	v_mul_f64 v[26:27], v[32:33], s[2:3]
	v_cvt_f32_f64_e32 v20, v[20:21]
	v_cvt_f32_f64_e32 v21, v[26:27]
	s_waitcnt vmcnt(0) lgkmcnt(1)
	v_mul_f32_e32 v35, v9, v7
	v_mul_f32_e32 v37, v9, v6
	v_fmac_f32_e32 v35, v8, v6
	v_mov_b32_e32 v6, v8
	ds_read2_b64 v[8:11], v171 offset0:84 offset1:165
	s_clause 0x1
	buffer_load_dword v42, off, s[20:23], 0 offset:96
	buffer_load_dword v43, off, s[20:23], 0 offset:100
	v_fma_f32 v37, v6, v7, -v37
	v_cvt_f64_f32_e32 v[6:7], v35
	v_cvt_f64_f32_e32 v[34:35], v34
	;; [unrolled: 1-line block ×4, first 2 shown]
	v_mul_f64 v[6:7], v[6:7], s[2:3]
	v_cvt_f32_f64_e32 v6, v[6:7]
	s_waitcnt vmcnt(0) lgkmcnt(0)
	v_mul_f32_e32 v28, v43, v11
	v_mul_f32_e32 v29, v43, v10
	s_clause 0x1
	buffer_load_dword v43, off, s[20:23], 0 offset:104
	buffer_load_dword v44, off, s[20:23], 0 offset:108
	v_fmac_f32_e32 v28, v42, v10
	v_fma_f32 v32, v42, v11, -v29
	v_mul_f64 v[10:11], v[22:23], s[2:3]
	v_mul_f64 v[22:23], v[36:37], s[2:3]
	v_cvt_f64_f32_e32 v[36:37], v38
	v_cvt_f64_f32_e32 v[28:29], v28
	;; [unrolled: 1-line block ×4, first 2 shown]
	v_cvt_f32_f64_e32 v7, v[10:11]
	v_cvt_f32_f64_e32 v11, v[22:23]
	v_mul_f64 v[26:27], v[36:37], s[2:3]
	v_mul_f64 v[22:23], v[32:33], s[2:3]
	v_cvt_f64_f32_e32 v[32:33], v2
	s_waitcnt vmcnt(0)
	v_mul_f32_e32 v40, v44, v15
	v_mul_f32_e32 v41, v44, v14
	v_fmac_f32_e32 v40, v43, v14
	v_fma_f32 v42, v43, v15, -v41
	v_mul_f64 v[14:15], v[34:35], s[2:3]
	v_add_co_u32 v34, vcc_lo, v24, s5
	v_cvt_f64_f32_e32 v[40:41], v40
	v_add_co_ci_u32_e32 v35, vcc_lo, s4, v25, vcc_lo
	v_add_co_u32 v44, vcc_lo, v34, s5
	global_store_dwordx2 v[24:25], v[30:31], off
	global_store_dwordx2 v[34:35], v[16:17], off
	v_add_co_ci_u32_e32 v45, vcc_lo, s4, v35, vcc_lo
	v_add_co_u32 v24, vcc_lo, v44, s5
	v_cvt_f64_f32_e32 v[42:43], v42
	global_store_dwordx2 v[44:45], v[18:19], off
	v_mul_f64 v[18:19], v[28:29], s[2:3]
	v_mul_f64 v[28:29], v[38:39], s[2:3]
	v_add_co_ci_u32_e32 v25, vcc_lo, s4, v45, vcc_lo
	v_add_co_u32 v38, vcc_lo, v24, s5
	v_cvt_f64_f32_e32 v[30:31], v0
	v_cvt_f32_f64_e32 v10, v[14:15]
	v_add_co_ci_u32_e32 v39, vcc_lo, s4, v25, vcc_lo
	v_mul_f64 v[34:35], v[40:41], s[2:3]
	v_add_co_u32 v40, vcc_lo, v38, s5
	v_add_co_ci_u32_e32 v41, vcc_lo, s4, v39, vcc_lo
	ds_read2_b64 v[14:17], v213 offset0:42 offset1:123
	global_store_dwordx2 v[24:25], v[20:21], off
	global_store_dwordx2 v[38:39], v[6:7], off
	v_cvt_f32_f64_e32 v7, v[22:23]
	v_cvt_f32_f64_e32 v22, v[26:27]
	v_mul_f64 v[26:27], v[32:33], s[2:3]
	v_mul_f64 v[36:37], v[42:43], s[2:3]
	v_cvt_f64_f32_e32 v[0:1], v1
	v_cvt_f32_f64_e32 v6, v[18:19]
	v_cvt_f32_f64_e32 v23, v[28:29]
	v_add_co_u32 v18, vcc_lo, v40, s5
	v_add_co_ci_u32_e32 v19, vcc_lo, s4, v41, vcc_lo
	v_mul_f64 v[24:25], v[30:31], s[2:3]
	global_store_dwordx2 v[40:41], v[10:11], off
	v_cvt_f64_f32_e32 v[10:11], v52
	v_add_co_u32 v32, vcc_lo, v18, s5
	v_cvt_f32_f64_e32 v28, v[34:35]
	s_clause 0x1
	buffer_load_dword v34, off, s[20:23], 0 offset:88
	buffer_load_dword v35, off, s[20:23], 0 offset:92
	v_add_co_ci_u32_e32 v33, vcc_lo, s4, v19, vcc_lo
	v_cvt_f64_f32_e32 v[30:31], v53
	v_cvt_f64_f32_e32 v[40:41], v48
	;; [unrolled: 1-line block ×3, first 2 shown]
	v_cvt_f32_f64_e32 v29, v[36:37]
	v_add_co_u32 v36, vcc_lo, v32, s5
	v_add_co_ci_u32_e32 v37, vcc_lo, s4, v33, vcc_lo
	global_store_dwordx2 v[18:19], v[6:7], off
	global_store_dwordx2 v[32:33], v[22:23], off
	v_cvt_f32_f64_e32 v33, v[26:27]
	v_mul_f64 v[26:27], v[0:1], s[2:3]
	v_mad_u64_u32 v[42:43], null, 0xffffbe30, s0, v[36:37]
	v_mul_f64 v[6:7], v[10:11], s[2:3]
	v_cvt_f32_f64_e32 v32, v[24:25]
	v_mul_f64 v[30:31], v[30:31], s[2:3]
	v_add_nc_u32_e32 v43, s1, v43
	global_store_dwordx2 v[36:37], v[28:29], off
	v_mul_f64 v[28:29], v[40:41], s[2:3]
	v_cvt_f64_f32_e32 v[40:41], v47
	v_cvt_f32_f64_e32 v26, v[26:27]
	v_cvt_f32_f64_e32 v6, v[6:7]
	;; [unrolled: 1-line block ×3, first 2 shown]
	s_waitcnt vmcnt(0) lgkmcnt(0)
	v_mul_f32_e32 v2, v35, v15
	v_mul_f32_e32 v20, v35, v14
	v_fmac_f32_e32 v2, v34, v14
	v_mov_b32_e32 v14, v34
	v_cvt_f64_f32_e32 v[34:35], v46
	v_cvt_f64_f32_e32 v[10:11], v2
	v_fma_f32 v14, v14, v15, -v20
	ds_read2_b64 v[18:21], v214 offset0:16 offset1:97
	s_clause 0x1
	buffer_load_dword v1, off, s[20:23], 0 offset:80
	buffer_load_dword v2, off, s[20:23], 0 offset:84
	v_cvt_f64_f32_e32 v[14:15], v14
	v_mul_f64 v[34:35], v[34:35], s[2:3]
	v_mul_f64 v[10:11], v[10:11], s[2:3]
	;; [unrolled: 1-line block ×3, first 2 shown]
	v_cvt_f32_f64_e32 v27, v[34:35]
	v_cvt_f32_f64_e32 v10, v[10:11]
	;; [unrolled: 1-line block ×3, first 2 shown]
	v_cvt_f64_f32_e32 v[14:15], v50
	v_mul_f64 v[14:15], v[14:15], s[2:3]
	s_waitcnt vmcnt(0) lgkmcnt(0)
	v_mul_f32_e32 v22, v2, v19
	v_mul_f32_e32 v0, v2, v18
	v_fmac_f32_e32 v22, v1, v18
	v_fma_f32 v23, v1, v19, -v0
	ds_read2_b64 v[0:3], v169 offset0:118 offset1:199
	v_mul_f64 v[18:19], v[38:39], s[2:3]
	v_add_co_u32 v38, vcc_lo, v42, s5
	v_cvt_f64_f32_e32 v[30:31], v22
	v_cvt_f64_f32_e32 v[36:37], v23
	ds_read2_b64 v[22:25], v168 offset0:92 offset1:173
	s_clause 0x1
	buffer_load_dword v46, off, s[20:23], 0 offset:72
	buffer_load_dword v47, off, s[20:23], 0 offset:76
	v_add_co_ci_u32_e32 v39, vcc_lo, s4, v43, vcc_lo
	v_add_co_u32 v34, vcc_lo, v38, s5
	v_add_co_ci_u32_e32 v35, vcc_lo, s4, v39, vcc_lo
	v_cvt_f32_f64_e32 v18, v[18:19]
	v_cvt_f32_f64_e32 v19, v[28:29]
	v_mul_f64 v[28:29], v[36:37], s[2:3]
	s_waitcnt vmcnt(0) lgkmcnt(1)
	v_mul_f32_e32 v44, v47, v1
	v_mul_f32_e32 v45, v47, v0
	v_fmac_f32_e32 v44, v46, v0
	v_fma_f32 v45, v46, v1, -v45
	v_mul_f64 v[0:1], v[30:31], s[2:3]
	s_clause 0x1
	buffer_load_dword v30, off, s[20:23], 0 offset:64
	buffer_load_dword v31, off, s[20:23], 0 offset:68
	v_cvt_f64_f32_e32 v[36:37], v45
	v_cvt_f32_f64_e32 v0, v[0:1]
	v_cvt_f32_f64_e32 v1, v[28:29]
	s_waitcnt vmcnt(0) lgkmcnt(0)
	v_mul_f32_e32 v48, v31, v23
	v_mov_b32_e32 v47, v30
	v_mul_f32_e32 v46, v31, v22
	v_cvt_f64_f32_e32 v[30:31], v44
	v_add_co_u32 v44, vcc_lo, v34, s5
	v_fmac_f32_e32 v48, v47, v22
	v_fma_f32 v50, v47, v23, -v46
	v_mul_f64 v[22:23], v[40:41], s[2:3]
	v_cvt_f64_f32_e32 v[40:41], v49
	v_cvt_f64_f32_e32 v[46:47], v51
	;; [unrolled: 1-line block ×4, first 2 shown]
	v_add_co_ci_u32_e32 v45, vcc_lo, s4, v35, vcc_lo
	v_add_co_u32 v52, vcc_lo, v44, s5
	v_add_co_ci_u32_e32 v53, vcc_lo, s4, v45, vcc_lo
	global_store_dwordx2 v[42:43], v[32:33], off
	global_store_dwordx2 v[38:39], v[6:7], off
	;; [unrolled: 1-line block ×5, first 2 shown]
	v_cvt_f64_f32_e32 v[34:35], v54
	v_mul_f64 v[10:11], v[36:37], s[2:3]
	v_cvt_f64_f32_e32 v[36:37], v55
	v_cvt_f64_f32_e32 v[38:39], v57
	v_mul_f64 v[6:7], v[30:31], s[2:3]
	v_add_co_u32 v18, vcc_lo, v52, s5
	v_add_co_ci_u32_e32 v19, vcc_lo, s4, v53, vcc_lo
	v_cvt_f32_f64_e32 v22, v[22:23]
	v_mul_f64 v[26:27], v[40:41], s[2:3]
	v_mul_f64 v[28:29], v[46:47], s[2:3]
	;; [unrolled: 1-line block ×4, first 2 shown]
	v_cvt_f32_f64_e32 v23, v[14:15]
	v_add_co_u32 v40, vcc_lo, v18, s5
	v_add_co_ci_u32_e32 v41, vcc_lo, s4, v19, vcc_lo
	s_clause 0x1
	buffer_load_dword v14, off, s[20:23], 0 offset:56
	buffer_load_dword v15, off, s[20:23], 0 offset:60
	v_cvt_f64_f32_e32 v[44:45], v59
	v_cvt_f32_f64_e32 v6, v[6:7]
	v_cvt_f32_f64_e32 v7, v[10:11]
	v_add_co_u32 v10, vcc_lo, v40, s5
	v_add_co_ci_u32_e32 v11, vcc_lo, s4, v41, vcc_lo
	v_cvt_f32_f64_e32 v26, v[26:27]
	v_cvt_f32_f64_e32 v27, v[28:29]
	;; [unrolled: 1-line block ×3, first 2 shown]
	v_mul_f64 v[30:31], v[34:35], s[2:3]
	v_cvt_f32_f64_e32 v29, v[32:33]
	v_add_co_u32 v34, vcc_lo, v10, s5
	v_add_co_ci_u32_e32 v35, vcc_lo, s4, v11, vcc_lo
	v_mul_f64 v[32:33], v[36:37], s[2:3]
	v_mul_f64 v[36:37], v[38:39], s[2:3]
	v_add_co_u32 v38, vcc_lo, v34, s5
	v_add_co_ci_u32_e32 v39, vcc_lo, s4, v35, vcc_lo
	global_store_dwordx2 v[18:19], v[0:1], off
	global_store_dwordx2 v[40:41], v[22:23], off
	;; [unrolled: 1-line block ×5, first 2 shown]
	s_clause 0x1
	buffer_load_dword v26, off, s[20:23], 0 offset:48
	buffer_load_dword v27, off, s[20:23], 0 offset:52
	v_cvt_f32_f64_e32 v0, v[30:31]
	s_clause 0x3
	buffer_load_dword v30, off, s[20:23], 0 offset:40
	buffer_load_dword v31, off, s[20:23], 0 offset:44
	;; [unrolled: 1-line block ×4, first 2 shown]
	v_cvt_f32_f64_e32 v1, v[32:33]
	v_cvt_f32_f64_e32 v7, v[36:37]
	s_waitcnt vmcnt(6)
	v_mul_f32_e32 v46, v15, v17
	v_mul_f32_e32 v42, v15, v16
	v_mov_b32_e32 v43, v14
	v_cvt_f64_f32_e32 v[14:15], v56
	v_fmac_f32_e32 v46, v43, v16
	v_fma_f32 v48, v43, v17, -v42
	v_cvt_f64_f32_e32 v[16:17], v58
	v_mad_u64_u32 v[42:43], null, 0xffffbe30, s0, v[38:39]
	v_cvt_f64_f32_e32 v[46:47], v46
	v_cvt_f64_f32_e32 v[48:49], v48
	v_add_nc_u32_e32 v43, s1, v43
	v_add_co_u32 v10, vcc_lo, v42, s5
	v_add_co_ci_u32_e32 v11, vcc_lo, s4, v43, vcc_lo
	v_mul_f64 v[14:15], v[14:15], s[2:3]
	s_waitcnt vmcnt(4)
	v_mul_f32_e32 v22, v27, v5
	v_mul_f32_e32 v18, v27, v4
	s_waitcnt vmcnt(2)
	v_mul_f32_e32 v28, v31, v21
	v_mul_f32_e32 v29, v31, v20
	v_mov_b32_e32 v33, v30
	s_waitcnt vmcnt(0)
	v_mul_f32_e32 v30, v35, v9
	v_mul_f32_e32 v31, v35, v8
	v_mov_b32_e32 v36, v34
	s_clause 0x1
	buffer_load_dword v34, off, s[20:23], 0 offset:24
	buffer_load_dword v35, off, s[20:23], 0 offset:28
	v_fmac_f32_e32 v22, v26, v4
	v_fma_f32 v26, v26, v5, -v18
	v_mul_f64 v[4:5], v[44:45], s[2:3]
	v_fmac_f32_e32 v30, v36, v8
	v_fma_f32 v31, v36, v9, -v31
	s_clause 0x3
	buffer_load_dword v36, off, s[20:23], 0 offset:16
	buffer_load_dword v37, off, s[20:23], 0 offset:20
	;; [unrolled: 1-line block ×4, first 2 shown]
	v_cvt_f64_f32_e32 v[22:23], v22
	v_cvt_f64_f32_e32 v[26:27], v26
	v_fmac_f32_e32 v28, v33, v20
	v_fma_f32 v20, v33, v21, -v29
	v_cvt_f32_f64_e32 v6, v[14:15]
	v_mul_f64 v[14:15], v[16:17], s[2:3]
	v_mul_f64 v[16:17], v[46:47], s[2:3]
	v_cvt_f64_f32_e32 v[8:9], v28
	v_cvt_f64_f32_e32 v[20:21], v20
	v_mul_f64 v[18:19], v[48:49], s[2:3]
	v_cvt_f64_f32_e32 v[28:29], v30
	v_cvt_f64_f32_e32 v[30:31], v31
	global_store_dwordx2 v[42:43], v[0:1], off
	global_store_dwordx2 v[10:11], v[6:7], off
	v_cvt_f32_f64_e32 v1, v[4:5]
	v_mul_f64 v[4:5], v[22:23], s[2:3]
	v_mul_f64 v[6:7], v[26:27], s[2:3]
	v_cvt_f32_f64_e32 v0, v[14:15]
	v_mul_f64 v[8:9], v[8:9], s[2:3]
	v_mul_f64 v[14:15], v[20:21], s[2:3]
	v_cvt_f32_f64_e32 v16, v[16:17]
	v_cvt_f32_f64_e32 v17, v[18:19]
	v_mul_f64 v[18:19], v[28:29], s[2:3]
	v_mul_f64 v[20:21], v[30:31], s[2:3]
	v_add_co_u32 v10, vcc_lo, v10, s5
	v_add_co_ci_u32_e32 v11, vcc_lo, s4, v11, vcc_lo
	v_add_co_u32 v30, vcc_lo, v10, s5
	v_add_co_ci_u32_e32 v31, vcc_lo, s4, v11, vcc_lo
	v_cvt_f32_f64_e32 v4, v[4:5]
	v_cvt_f32_f64_e32 v5, v[6:7]
	v_add_co_u32 v6, vcc_lo, v30, s5
	v_add_co_ci_u32_e32 v7, vcc_lo, s4, v31, vcc_lo
	v_cvt_f32_f64_e32 v8, v[8:9]
	v_cvt_f32_f64_e32 v9, v[14:15]
	;; [unrolled: 4-line block ×3, first 2 shown]
	global_store_dwordx2 v[10:11], v[0:1], off
	global_store_dwordx2 v[30:31], v[16:17], off
	global_store_dwordx2 v[6:7], v[4:5], off
	s_waitcnt vmcnt(4)
	v_mul_f32_e32 v32, v35, v3
	v_mov_b32_e32 v38, v34
	v_fmac_f32_e32 v32, v34, v2
	v_mul_f32_e32 v2, v35, v2
	s_waitcnt vmcnt(2)
	v_mul_f32_e32 v34, v37, v13
	v_mul_f32_e32 v35, v37, v12
	v_mov_b32_e32 v39, v36
	s_waitcnt vmcnt(0)
	v_mul_f32_e32 v36, v41, v25
	v_mul_f32_e32 v37, v41, v24
	v_fma_f32 v2, v38, v3, -v2
	v_cvt_f64_f32_e32 v[32:33], v32
	v_fmac_f32_e32 v34, v39, v12
	v_fma_f32 v35, v39, v13, -v35
	v_fmac_f32_e32 v36, v40, v24
	v_fma_f32 v37, v40, v25, -v37
	v_cvt_f64_f32_e32 v[2:3], v2
	v_cvt_f64_f32_e32 v[12:13], v34
	;; [unrolled: 1-line block ×5, first 2 shown]
	v_mul_f64 v[22:23], v[32:33], s[2:3]
	v_mul_f64 v[2:3], v[2:3], s[2:3]
	;; [unrolled: 1-line block ×6, first 2 shown]
	v_cvt_f32_f64_e32 v20, v[22:23]
	v_add_co_u32 v22, vcc_lo, v14, s5
	v_add_co_ci_u32_e32 v23, vcc_lo, s4, v15, vcc_lo
	v_cvt_f32_f64_e32 v21, v[2:3]
	v_cvt_f32_f64_e32 v2, v[12:13]
	;; [unrolled: 1-line block ×5, first 2 shown]
	v_add_co_u32 v0, vcc_lo, v22, s5
	v_add_co_ci_u32_e32 v1, vcc_lo, s4, v23, vcc_lo
	v_add_co_u32 v10, vcc_lo, v0, s5
	v_add_co_ci_u32_e32 v11, vcc_lo, s4, v1, vcc_lo
	;; [unrolled: 2-line block ×3, first 2 shown]
	global_store_dwordx2 v[14:15], v[8:9], off
	global_store_dwordx2 v[22:23], v[18:19], off
	;; [unrolled: 1-line block ×5, first 2 shown]
.LBB0_2:
	s_endpgm
	.section	.rodata,"a",@progbits
	.p2align	6, 0x0
	.amdhsa_kernel bluestein_single_fwd_len2430_dim1_sp_op_CI_CI
		.amdhsa_group_segment_fixed_size 19440
		.amdhsa_private_segment_fixed_size 612
		.amdhsa_kernarg_size 104
		.amdhsa_user_sgpr_count 6
		.amdhsa_user_sgpr_private_segment_buffer 1
		.amdhsa_user_sgpr_dispatch_ptr 0
		.amdhsa_user_sgpr_queue_ptr 0
		.amdhsa_user_sgpr_kernarg_segment_ptr 1
		.amdhsa_user_sgpr_dispatch_id 0
		.amdhsa_user_sgpr_flat_scratch_init 0
		.amdhsa_user_sgpr_private_segment_size 0
		.amdhsa_wavefront_size32 1
		.amdhsa_uses_dynamic_stack 0
		.amdhsa_system_sgpr_private_segment_wavefront_offset 1
		.amdhsa_system_sgpr_workgroup_id_x 1
		.amdhsa_system_sgpr_workgroup_id_y 0
		.amdhsa_system_sgpr_workgroup_id_z 0
		.amdhsa_system_sgpr_workgroup_info 0
		.amdhsa_system_vgpr_workitem_id 0
		.amdhsa_next_free_vgpr 256
		.amdhsa_next_free_sgpr 24
		.amdhsa_reserve_vcc 1
		.amdhsa_reserve_flat_scratch 0
		.amdhsa_float_round_mode_32 0
		.amdhsa_float_round_mode_16_64 0
		.amdhsa_float_denorm_mode_32 3
		.amdhsa_float_denorm_mode_16_64 3
		.amdhsa_dx10_clamp 1
		.amdhsa_ieee_mode 1
		.amdhsa_fp16_overflow 0
		.amdhsa_workgroup_processor_mode 1
		.amdhsa_memory_ordered 1
		.amdhsa_forward_progress 0
		.amdhsa_shared_vgpr_count 0
		.amdhsa_exception_fp_ieee_invalid_op 0
		.amdhsa_exception_fp_denorm_src 0
		.amdhsa_exception_fp_ieee_div_zero 0
		.amdhsa_exception_fp_ieee_overflow 0
		.amdhsa_exception_fp_ieee_underflow 0
		.amdhsa_exception_fp_ieee_inexact 0
		.amdhsa_exception_int_div_zero 0
	.end_amdhsa_kernel
	.text
.Lfunc_end0:
	.size	bluestein_single_fwd_len2430_dim1_sp_op_CI_CI, .Lfunc_end0-bluestein_single_fwd_len2430_dim1_sp_op_CI_CI
                                        ; -- End function
	.section	.AMDGPU.csdata,"",@progbits
; Kernel info:
; codeLenInByte = 34316
; NumSgprs: 26
; NumVgprs: 256
; ScratchSize: 612
; MemoryBound: 0
; FloatMode: 240
; IeeeMode: 1
; LDSByteSize: 19440 bytes/workgroup (compile time only)
; SGPRBlocks: 3
; VGPRBlocks: 31
; NumSGPRsForWavesPerEU: 26
; NumVGPRsForWavesPerEU: 256
; Occupancy: 4
; WaveLimiterHint : 1
; COMPUTE_PGM_RSRC2:SCRATCH_EN: 1
; COMPUTE_PGM_RSRC2:USER_SGPR: 6
; COMPUTE_PGM_RSRC2:TRAP_HANDLER: 0
; COMPUTE_PGM_RSRC2:TGID_X_EN: 1
; COMPUTE_PGM_RSRC2:TGID_Y_EN: 0
; COMPUTE_PGM_RSRC2:TGID_Z_EN: 0
; COMPUTE_PGM_RSRC2:TIDIG_COMP_CNT: 0
	.text
	.p2alignl 6, 3214868480
	.fill 48, 4, 3214868480
	.type	__hip_cuid_7ec8742c2c99a1be,@object ; @__hip_cuid_7ec8742c2c99a1be
	.section	.bss,"aw",@nobits
	.globl	__hip_cuid_7ec8742c2c99a1be
__hip_cuid_7ec8742c2c99a1be:
	.byte	0                               ; 0x0
	.size	__hip_cuid_7ec8742c2c99a1be, 1

	.ident	"AMD clang version 19.0.0git (https://github.com/RadeonOpenCompute/llvm-project roc-6.4.0 25133 c7fe45cf4b819c5991fe208aaa96edf142730f1d)"
	.section	".note.GNU-stack","",@progbits
	.addrsig
	.addrsig_sym __hip_cuid_7ec8742c2c99a1be
	.amdgpu_metadata
---
amdhsa.kernels:
  - .args:
      - .actual_access:  read_only
        .address_space:  global
        .offset:         0
        .size:           8
        .value_kind:     global_buffer
      - .actual_access:  read_only
        .address_space:  global
        .offset:         8
        .size:           8
        .value_kind:     global_buffer
      - .actual_access:  read_only
        .address_space:  global
        .offset:         16
        .size:           8
        .value_kind:     global_buffer
      - .actual_access:  read_only
        .address_space:  global
        .offset:         24
        .size:           8
        .value_kind:     global_buffer
      - .actual_access:  read_only
        .address_space:  global
        .offset:         32
        .size:           8
        .value_kind:     global_buffer
      - .offset:         40
        .size:           8
        .value_kind:     by_value
      - .address_space:  global
        .offset:         48
        .size:           8
        .value_kind:     global_buffer
      - .address_space:  global
        .offset:         56
        .size:           8
        .value_kind:     global_buffer
      - .address_space:  global
        .offset:         64
        .size:           8
        .value_kind:     global_buffer
      - .address_space:  global
        .offset:         72
        .size:           8
        .value_kind:     global_buffer
      - .offset:         80
        .size:           4
        .value_kind:     by_value
      - .address_space:  global
        .offset:         88
        .size:           8
        .value_kind:     global_buffer
      - .address_space:  global
        .offset:         96
        .size:           8
        .value_kind:     global_buffer
    .group_segment_fixed_size: 19440
    .kernarg_segment_align: 8
    .kernarg_segment_size: 104
    .language:       OpenCL C
    .language_version:
      - 2
      - 0
    .max_flat_workgroup_size: 81
    .name:           bluestein_single_fwd_len2430_dim1_sp_op_CI_CI
    .private_segment_fixed_size: 612
    .sgpr_count:     26
    .sgpr_spill_count: 0
    .symbol:         bluestein_single_fwd_len2430_dim1_sp_op_CI_CI.kd
    .uniform_work_group_size: 1
    .uses_dynamic_stack: false
    .vgpr_count:     256
    .vgpr_spill_count: 153
    .wavefront_size: 32
    .workgroup_processor_mode: 1
amdhsa.target:   amdgcn-amd-amdhsa--gfx1030
amdhsa.version:
  - 1
  - 2
...

	.end_amdgpu_metadata
